;; amdgpu-corpus repo=ROCm/rocFFT kind=compiled arch=gfx906 opt=O3
	.text
	.amdgcn_target "amdgcn-amd-amdhsa--gfx906"
	.amdhsa_code_object_version 6
	.protected	bluestein_single_back_len1700_dim1_sp_op_CI_CI ; -- Begin function bluestein_single_back_len1700_dim1_sp_op_CI_CI
	.globl	bluestein_single_back_len1700_dim1_sp_op_CI_CI
	.p2align	8
	.type	bluestein_single_back_len1700_dim1_sp_op_CI_CI,@function
bluestein_single_back_len1700_dim1_sp_op_CI_CI: ; @bluestein_single_back_len1700_dim1_sp_op_CI_CI
; %bb.0:
	s_load_dwordx4 s[0:3], s[4:5], 0x28
	v_mul_u32_u24_e32 v1, 0x182, v0
	v_add_u32_sdwa v233, s6, v1 dst_sel:DWORD dst_unused:UNUSED_PAD src0_sel:DWORD src1_sel:WORD_1
	v_mov_b32_e32 v234, 0
	s_waitcnt lgkmcnt(0)
	v_cmp_gt_u64_e32 vcc, s[0:1], v[233:234]
	s_and_saveexec_b64 s[0:1], vcc
	s_cbranch_execz .LBB0_15
; %bb.1:
	s_load_dwordx2 s[8:9], s[4:5], 0x0
	s_load_dwordx2 s[10:11], s[4:5], 0x38
	s_movk_i32 s0, 0xaa
	v_mul_lo_u16_sdwa v1, v1, s0 dst_sel:DWORD dst_unused:UNUSED_PAD src0_sel:WORD_1 src1_sel:DWORD
	v_sub_u16_e32 v234, v0, v1
	s_movk_i32 s0, 0x64
	v_cmp_gt_u16_e64 s[0:1], s0, v234
	v_lshlrev_b32_e32 v83, 3, v234
	s_and_saveexec_b64 s[6:7], s[0:1]
	s_cbranch_execz .LBB0_3
; %bb.2:
	s_load_dwordx2 s[12:13], s[4:5], 0x18
	s_waitcnt lgkmcnt(0)
	s_load_dwordx4 s[12:15], s[12:13], 0x0
	s_waitcnt lgkmcnt(0)
	v_mad_u64_u32 v[0:1], s[16:17], s14, v233, 0
	v_mad_u64_u32 v[2:3], s[16:17], s12, v234, 0
	;; [unrolled: 1-line block ×4, first 2 shown]
	v_mov_b32_e32 v1, v4
	v_lshlrev_b64 v[0:1], 3, v[0:1]
	v_mov_b32_e32 v3, v5
	v_mov_b32_e32 v6, s3
	v_lshlrev_b64 v[2:3], 3, v[2:3]
	v_add_co_u32_e32 v0, vcc, s2, v0
	v_addc_co_u32_e32 v1, vcc, v6, v1, vcc
	v_add_co_u32_e32 v0, vcc, v0, v2
	v_addc_co_u32_e32 v1, vcc, v1, v3, vcc
	v_mov_b32_e32 v2, s9
	v_add_co_u32_e32 v69, vcc, s8, v83
	s_mul_i32 s2, s13, 0x320
	s_mul_hi_u32 s3, s12, 0x320
	v_addc_co_u32_e32 v70, vcc, 0, v2, vcc
	s_add_i32 s2, s3, s2
	s_mul_i32 s3, s12, 0x320
	v_mov_b32_e32 v3, s2
	v_add_co_u32_e32 v2, vcc, s3, v0
	v_addc_co_u32_e32 v3, vcc, v1, v3, vcc
	v_mov_b32_e32 v5, s2
	v_add_co_u32_e32 v4, vcc, s3, v2
	v_addc_co_u32_e32 v5, vcc, v3, v5, vcc
	v_mov_b32_e32 v13, s2
	v_add_co_u32_e32 v12, vcc, s3, v4
	v_addc_co_u32_e32 v13, vcc, v5, v13, vcc
	global_load_dwordx2 v[6:7], v83, s[8:9]
	global_load_dwordx2 v[8:9], v83, s[8:9] offset:800
	global_load_dwordx2 v[10:11], v83, s[8:9] offset:1600
	global_load_dwordx2 v[14:15], v[0:1], off
	global_load_dwordx2 v[16:17], v[2:3], off
	;; [unrolled: 1-line block ×4, first 2 shown]
	v_mov_b32_e32 v1, s2
	v_add_co_u32_e32 v0, vcc, s3, v12
	v_addc_co_u32_e32 v1, vcc, v13, v1, vcc
	global_load_dwordx2 v[2:3], v[0:1], off
	v_mov_b32_e32 v4, s2
	v_add_co_u32_e32 v0, vcc, s3, v0
	v_addc_co_u32_e32 v1, vcc, v1, v4, vcc
	global_load_dwordx2 v[4:5], v[0:1], off
	global_load_dwordx2 v[12:13], v83, s[8:9] offset:2400
	global_load_dwordx2 v[22:23], v83, s[8:9] offset:3200
	;; [unrolled: 1-line block ×3, first 2 shown]
	v_mov_b32_e32 v26, s2
	v_add_co_u32_e32 v0, vcc, s3, v0
	v_addc_co_u32_e32 v1, vcc, v1, v26, vcc
	s_movk_i32 s12, 0x1000
	v_add_co_u32_e32 v28, vcc, s12, v69
	v_addc_co_u32_e32 v29, vcc, 0, v70, vcc
	global_load_dwordx2 v[26:27], v[0:1], off
	v_mov_b32_e32 v30, s2
	v_add_co_u32_e32 v0, vcc, s3, v0
	v_addc_co_u32_e32 v1, vcc, v1, v30, vcc
	global_load_dwordx2 v[30:31], v[0:1], off
	v_mov_b32_e32 v32, s2
	;; [unrolled: 4-line block ×3, first 2 shown]
	v_add_co_u32_e32 v0, vcc, s3, v0
	v_addc_co_u32_e32 v1, vcc, v1, v34, vcc
	global_load_dwordx2 v[34:35], v[0:1], off
	global_load_dwordx2 v[36:37], v[28:29], off offset:704
	global_load_dwordx2 v[38:39], v[28:29], off offset:1504
	;; [unrolled: 1-line block ×4, first 2 shown]
	v_mov_b32_e32 v44, s2
	v_add_co_u32_e32 v0, vcc, s3, v0
	v_addc_co_u32_e32 v1, vcc, v1, v44, vcc
	global_load_dwordx2 v[44:45], v[0:1], off
	global_load_dwordx2 v[46:47], v[28:29], off offset:3904
	v_mov_b32_e32 v28, s2
	v_add_co_u32_e32 v0, vcc, s3, v0
	v_addc_co_u32_e32 v1, vcc, v1, v28, vcc
	s_movk_i32 s12, 0x2000
	v_add_co_u32_e32 v48, vcc, s12, v69
	v_addc_co_u32_e32 v49, vcc, 0, v70, vcc
	global_load_dwordx2 v[28:29], v[0:1], off
	v_mov_b32_e32 v52, s2
	v_add_co_u32_e32 v0, vcc, s3, v0
	v_addc_co_u32_e32 v1, vcc, v1, v52, vcc
	global_load_dwordx2 v[52:53], v[0:1], off
	v_mov_b32_e32 v54, s2
	;; [unrolled: 4-line block ×3, first 2 shown]
	v_add_co_u32_e32 v0, vcc, s3, v0
	v_addc_co_u32_e32 v1, vcc, v1, v56, vcc
	global_load_dwordx2 v[50:51], v[48:49], off offset:608
	global_load_dwordx2 v[56:57], v[0:1], off
	global_load_dwordx2 v[58:59], v[48:49], off offset:1408
	global_load_dwordx2 v[60:61], v[48:49], off offset:2208
	;; [unrolled: 1-line block ×3, first 2 shown]
	v_mov_b32_e32 v65, s2
	v_add_co_u32_e32 v0, vcc, s3, v0
	v_addc_co_u32_e32 v1, vcc, v1, v65, vcc
	global_load_dwordx2 v[65:66], v[0:1], off
	global_load_dwordx2 v[67:68], v[48:49], off offset:3808
	v_mov_b32_e32 v48, s2
	v_add_co_u32_e32 v0, vcc, s3, v0
	v_addc_co_u32_e32 v1, vcc, v1, v48, vcc
	v_add_co_u32_e32 v48, vcc, 0x3000, v69
	v_addc_co_u32_e32 v49, vcc, 0, v70, vcc
	global_load_dwordx2 v[0:1], v[0:1], off
	s_waitcnt vmcnt(29)
	v_mul_f32_e32 v69, v15, v7
	global_load_dwordx2 v[48:49], v[48:49], off offset:512
	v_mul_f32_e32 v7, v14, v7
	v_fmac_f32_e32 v69, v14, v6
	v_fma_f32 v70, v15, v6, -v7
	s_waitcnt vmcnt(29)
	v_mul_f32_e32 v6, v17, v9
	v_mul_f32_e32 v7, v16, v9
	v_fmac_f32_e32 v6, v16, v8
	v_fma_f32 v7, v17, v8, -v7
	ds_write2_b64 v83, v[69:70], v[6:7] offset1:100
	s_waitcnt vmcnt(28)
	v_mul_f32_e32 v6, v19, v11
	v_mul_f32_e32 v7, v18, v11
	s_waitcnt vmcnt(24)
	v_mul_f32_e32 v8, v21, v13
	v_mul_f32_e32 v9, v20, v13
	v_fmac_f32_e32 v6, v18, v10
	v_fma_f32 v7, v19, v10, -v7
	v_fmac_f32_e32 v8, v20, v12
	v_fma_f32 v9, v21, v12, -v9
	v_add_u32_e32 v10, 0x400, v83
	ds_write2_b64 v10, v[6:7], v[8:9] offset0:72 offset1:172
	s_waitcnt vmcnt(23)
	v_mul_f32_e32 v6, v3, v23
	v_fmac_f32_e32 v6, v2, v22
	v_mul_f32_e32 v2, v2, v23
	v_fma_f32 v7, v3, v22, -v2
	s_waitcnt vmcnt(22)
	v_mul_f32_e32 v2, v5, v25
	v_mul_f32_e32 v3, v4, v25
	v_fmac_f32_e32 v2, v4, v24
	v_fma_f32 v3, v5, v24, -v3
	v_add_u32_e32 v4, 0x800, v83
	ds_write2_b64 v4, v[6:7], v[2:3] offset0:144 offset1:244
	s_waitcnt vmcnt(17)
	v_mul_f32_e32 v2, v27, v37
	v_mul_f32_e32 v3, v26, v37
	s_waitcnt vmcnt(16)
	v_mul_f32_e32 v4, v31, v39
	v_mul_f32_e32 v5, v30, v39
	v_fmac_f32_e32 v2, v26, v36
	v_fma_f32 v3, v27, v36, -v3
	v_fmac_f32_e32 v4, v30, v38
	v_fma_f32 v5, v31, v38, -v5
	v_add_u32_e32 v6, 0x1000, v83
	ds_write2_b64 v6, v[2:3], v[4:5] offset0:88 offset1:188
	s_waitcnt vmcnt(15)
	v_mul_f32_e32 v2, v33, v41
	v_mul_f32_e32 v3, v32, v41
	s_waitcnt vmcnt(14)
	v_mul_f32_e32 v4, v35, v43
	v_mul_f32_e32 v5, v34, v43
	v_fmac_f32_e32 v2, v32, v40
	v_fma_f32 v3, v33, v40, -v3
	v_fmac_f32_e32 v4, v34, v42
	v_fma_f32 v5, v35, v42, -v5
	v_add_u32_e32 v6, 0x1800, v83
	ds_write2_b64 v6, v[2:3], v[4:5] offset0:32 offset1:132
	s_waitcnt vmcnt(12)
	v_mul_f32_e32 v2, v45, v47
	v_mul_f32_e32 v3, v44, v47
	v_fmac_f32_e32 v2, v44, v46
	v_fma_f32 v3, v45, v46, -v3
	v_add_u32_e32 v6, 0x1c00, v83
	s_waitcnt vmcnt(8)
	v_mul_f32_e32 v4, v29, v51
	v_mul_f32_e32 v5, v28, v51
	v_fmac_f32_e32 v4, v28, v50
	v_fma_f32 v5, v29, v50, -v5
	ds_write2_b64 v6, v[2:3], v[4:5] offset0:104 offset1:204
	s_waitcnt vmcnt(6)
	v_mul_f32_e32 v2, v53, v59
	v_mul_f32_e32 v3, v52, v59
	s_waitcnt vmcnt(5)
	v_mul_f32_e32 v4, v55, v61
	v_mul_f32_e32 v5, v54, v61
	v_fmac_f32_e32 v2, v52, v58
	v_fma_f32 v3, v53, v58, -v3
	v_fmac_f32_e32 v4, v54, v60
	v_fma_f32 v5, v55, v60, -v5
	v_add_u32_e32 v6, 0x2400, v83
	ds_write2_b64 v6, v[2:3], v[4:5] offset0:48 offset1:148
	s_waitcnt vmcnt(4)
	v_mul_f32_e32 v2, v57, v63
	v_mul_f32_e32 v3, v56, v63
	s_waitcnt vmcnt(2)
	v_mul_f32_e32 v4, v66, v68
	v_mul_f32_e32 v5, v65, v68
	v_fmac_f32_e32 v2, v56, v62
	v_fma_f32 v3, v57, v62, -v3
	v_fmac_f32_e32 v4, v65, v67
	v_fma_f32 v5, v66, v67, -v5
	v_add_u32_e32 v6, 0x2800, v83
	ds_write2_b64 v6, v[2:3], v[4:5] offset0:120 offset1:220
	s_waitcnt vmcnt(0)
	v_mul_f32_e32 v2, v1, v49
	v_fmac_f32_e32 v2, v0, v48
	v_mul_f32_e32 v0, v0, v49
	v_fma_f32 v3, v1, v48, -v0
	ds_write_b64 v83, v[2:3] offset:12800
.LBB0_3:
	s_or_b64 exec, exec, s[6:7]
	s_load_dwordx2 s[6:7], s[4:5], 0x20
	s_load_dwordx2 s[2:3], s[4:5], 0x8
	v_mov_b32_e32 v12, 0
	v_mov_b32_e32 v13, 0
	s_waitcnt lgkmcnt(0)
	s_barrier
	s_waitcnt lgkmcnt(0)
                                        ; implicit-def: $vgpr18
                                        ; implicit-def: $vgpr24
                                        ; implicit-def: $vgpr36
                                        ; implicit-def: $vgpr40
                                        ; implicit-def: $vgpr44
                                        ; implicit-def: $vgpr34
                                        ; implicit-def: $vgpr30
                                        ; implicit-def: $vgpr22
	s_and_saveexec_b64 s[4:5], s[0:1]
	s_cbranch_execz .LBB0_5
; %bb.4:
	v_add_u32_e32 v0, 0x400, v83
	ds_read2_b64 v[20:23], v0 offset0:72 offset1:172
	v_add_u32_e32 v0, 0x800, v83
	ds_read2_b64 v[28:31], v0 offset0:144 offset1:244
	;; [unrolled: 2-line block ×6, first 2 shown]
	v_add_u32_e32 v0, 0x2800, v83
	ds_read2_b64 v[12:15], v83 offset1:100
	ds_read2_b64 v[40:43], v0 offset0:120 offset1:220
	ds_read_b64 v[44:45], v83 offset:12800
.LBB0_5:
	s_or_b64 exec, exec, s[4:5]
	s_waitcnt lgkmcnt(0)
	v_sub_f32_e32 v76, v15, v45
	v_mul_f32_e32 v57, 0xbeb8f4ab, v76
	v_sub_f32_e32 v81, v21, v43
	v_add_f32_e32 v46, v44, v14
	v_sub_f32_e32 v79, v14, v44
	v_mov_b32_e32 v0, v57
	v_mul_f32_e32 v199, 0xbf2c7751, v81
	v_add_f32_e32 v47, v45, v15
	s_mov_b32 s12, 0x3f6eb680
	v_mul_f32_e32 v51, 0xbeb8f4ab, v79
	v_fmac_f32_e32 v0, 0x3f6eb680, v46
	v_add_f32_e32 v48, v42, v20
	v_sub_f32_e32 v86, v20, v42
	v_mov_b32_e32 v2, v199
	v_add_f32_e32 v0, v0, v12
	v_fma_f32 v1, v47, s12, -v51
	s_mov_b32 s13, 0x3f3d2fb0
	v_add_f32_e32 v50, v43, v21
	v_mul_f32_e32 v226, 0xbf2c7751, v86
	v_fmac_f32_e32 v2, 0x3f3d2fb0, v48
	v_sub_f32_e32 v88, v23, v41
	v_add_f32_e32 v1, v1, v13
	v_add_f32_e32 v0, v2, v0
	v_fma_f32 v2, v50, s13, -v226
	v_mul_f32_e32 v213, 0xbf65296c, v88
	v_add_f32_e32 v1, v2, v1
	v_add_f32_e32 v52, v40, v22
	v_sub_f32_e32 v91, v22, v40
	v_mov_b32_e32 v2, v213
	s_mov_b32 s14, 0x3ee437d1
	v_add_f32_e32 v54, v41, v23
	v_mul_f32_e32 v59, 0xbf65296c, v91
	v_fmac_f32_e32 v2, 0x3ee437d1, v52
	v_sub_f32_e32 v100, v29, v39
	v_add_f32_e32 v0, v2, v0
	v_fma_f32 v2, v54, s14, -v59
	v_mul_f32_e32 v61, 0xbf7ee86f, v100
	v_add_f32_e32 v1, v2, v1
	v_add_f32_e32 v56, v38, v28
	v_sub_f32_e32 v107, v28, v38
	v_mov_b32_e32 v2, v61
	s_mov_b32 s15, 0x3dbcf732
	v_add_f32_e32 v58, v39, v29
	v_mul_f32_e32 v63, 0xbf7ee86f, v107
	v_fmac_f32_e32 v2, 0x3dbcf732, v56
	v_sub_f32_e32 v108, v31, v37
	v_add_f32_e32 v0, v2, v0
	v_fma_f32 v2, v58, s15, -v63
	v_mul_f32_e32 v68, 0xbf763a35, v108
	v_add_f32_e32 v1, v2, v1
	v_add_f32_e32 v60, v36, v30
	v_sub_f32_e32 v117, v30, v36
	v_mov_b32_e32 v2, v68
	s_mov_b32 s16, 0xbe8c1d8e
	v_add_f32_e32 v62, v37, v31
	v_mul_f32_e32 v70, 0xbf763a35, v117
	v_fmac_f32_e32 v2, 0xbe8c1d8e, v60
	v_sub_f32_e32 v118, v33, v27
	v_add_f32_e32 v0, v2, v0
	v_fma_f32 v2, v62, s16, -v70
	v_mul_f32_e32 v72, 0xbf4c4adb, v118
	v_add_f32_e32 v1, v2, v1
	v_add_f32_e32 v67, v26, v32
	v_sub_f32_e32 v127, v32, v26
	v_mov_b32_e32 v2, v72
	s_mov_b32 s17, 0xbf1a4643
	v_add_f32_e32 v69, v27, v33
	v_mul_f32_e32 v74, 0xbf4c4adb, v127
	v_fmac_f32_e32 v2, 0xbf1a4643, v67
	v_sub_f32_e32 v130, v35, v25
	v_add_f32_e32 v0, v2, v0
	v_fma_f32 v2, v69, s17, -v74
	v_mul_f32_e32 v77, 0xbf06c442, v130
	v_add_f32_e32 v1, v2, v1
	v_add_f32_e32 v71, v24, v34
	v_sub_f32_e32 v137, v34, v24
	v_mov_b32_e32 v2, v77
	s_mov_b32 s18, 0xbf59a7d5
	v_add_f32_e32 v73, v25, v35
	v_mul_f32_e32 v80, 0xbf06c442, v137
	v_fmac_f32_e32 v2, 0xbf59a7d5, v71
	v_sub_f32_e32 v145, v17, v19
	v_add_f32_e32 v0, v2, v0
	v_fma_f32 v2, v73, s18, -v80
	v_mul_f32_e32 v82, 0xbe3c28d5, v145
	v_add_f32_e32 v1, v2, v1
	v_add_f32_e32 v75, v18, v16
	v_mov_b32_e32 v2, v82
	v_sub_f32_e32 v147, v16, v18
	s_mov_b32 s19, 0xbf7ba420
	v_fmac_f32_e32 v2, 0xbf7ba420, v75
	v_add_f32_e32 v78, v19, v17
	v_mul_f32_e32 v87, 0xbe3c28d5, v147
	v_add_f32_e32 v65, v2, v0
	v_fma_f32 v0, v78, s19, -v87
	v_mul_f32_e32 v89, 0xbf2c7751, v76
	v_add_f32_e32 v66, v0, v1
	v_mov_b32_e32 v0, v89
	v_mul_f32_e32 v90, 0xbf7ee86f, v81
	v_fmac_f32_e32 v0, 0x3f3d2fb0, v46
	v_mov_b32_e32 v1, v90
	v_add_f32_e32 v0, v0, v12
	v_fmac_f32_e32 v1, 0x3dbcf732, v48
	v_mul_f32_e32 v95, 0xbf2c7751, v79
	v_add_f32_e32 v0, v1, v0
	v_fma_f32 v1, v47, s13, -v95
	v_mul_f32_e32 v96, 0xbf7ee86f, v86
	v_add_f32_e32 v1, v1, v13
	v_fma_f32 v2, v50, s15, -v96
	v_mul_f32_e32 v92, 0xbf4c4adb, v88
	v_add_f32_e32 v1, v2, v1
	v_mov_b32_e32 v2, v92
	v_fmac_f32_e32 v2, 0xbf1a4643, v52
	v_mul_f32_e32 v98, 0xbf4c4adb, v91
	v_add_f32_e32 v0, v2, v0
	v_fma_f32 v2, v54, s17, -v98
	v_mul_f32_e32 v93, 0xbe3c28d5, v100
	v_add_f32_e32 v1, v2, v1
	v_mov_b32_e32 v2, v93
	v_fmac_f32_e32 v2, 0xbf7ba420, v56
	;; [unrolled: 7-line block ×6, first 2 shown]
	v_mul_f32_e32 v106, 0x3eb8f4ab, v147
	v_mul_f32_e32 v109, 0xbf65296c, v76
	v_fma_f32 v3, v78, s12, -v106
	v_add_f32_e32 v2, v2, v0
	v_mov_b32_e32 v0, v109
	v_mul_f32_e32 v110, 0xbf4c4adb, v81
	v_add_f32_e32 v3, v3, v1
	v_fmac_f32_e32 v0, 0x3ee437d1, v46
	v_mov_b32_e32 v1, v110
	v_add_f32_e32 v0, v0, v12
	v_fmac_f32_e32 v1, 0xbf1a4643, v48
	v_mul_f32_e32 v111, 0x3e3c28d5, v88
	v_add_f32_e32 v0, v1, v0
	v_mov_b32_e32 v1, v111
	v_fmac_f32_e32 v1, 0xbf7ba420, v52
	v_mul_f32_e32 v112, 0x3f763a35, v100
	v_add_f32_e32 v0, v1, v0
	v_mov_b32_e32 v1, v112
	;; [unrolled: 4-line block ×6, first 2 shown]
	v_fmac_f32_e32 v1, 0xbf59a7d5, v75
	v_mul_f32_e32 v119, 0xbf65296c, v79
	v_add_f32_e32 v0, v1, v0
	v_fma_f32 v1, v47, s14, -v119
	v_mul_f32_e32 v120, 0xbf4c4adb, v86
	v_add_f32_e32 v1, v1, v13
	v_fma_f32 v4, v50, s17, -v120
	;; [unrolled: 3-line block ×8, first 2 shown]
	v_mul_f32_e32 v128, 0xbf7ee86f, v76
	v_add_f32_e32 v1, v4, v1
	v_mov_b32_e32 v4, v128
	v_mul_f32_e32 v129, 0xbe3c28d5, v81
	v_fmac_f32_e32 v4, 0x3dbcf732, v46
	v_mov_b32_e32 v5, v129
	v_add_f32_e32 v4, v4, v12
	v_fmac_f32_e32 v5, 0xbf7ba420, v48
	v_mul_f32_e32 v134, 0xbf7ee86f, v79
	v_add_f32_e32 v4, v5, v4
	v_fma_f32 v5, v47, s15, -v134
	v_mul_f32_e32 v135, 0xbe3c28d5, v86
	v_add_f32_e32 v5, v5, v13
	v_fma_f32 v6, v50, s19, -v135
	v_mul_f32_e32 v131, 0x3f763a35, v88
	v_add_f32_e32 v5, v6, v5
	v_mov_b32_e32 v6, v131
	v_fmac_f32_e32 v6, 0xbe8c1d8e, v52
	v_mul_f32_e32 v138, 0x3f763a35, v91
	v_add_f32_e32 v4, v6, v4
	v_fma_f32 v6, v54, s16, -v138
	v_mul_f32_e32 v132, 0x3eb8f4ab, v100
	v_add_f32_e32 v5, v6, v5
	v_mov_b32_e32 v6, v132
	v_fmac_f32_e32 v6, 0x3f6eb680, v56
	;; [unrolled: 7-line block ×6, first 2 shown]
	v_mul_f32_e32 v146, 0x3f2c7751, v147
	v_mul_f32_e32 v148, 0xbf763a35, v76
	v_fma_f32 v7, v78, s13, -v146
	v_add_f32_e32 v6, v6, v4
	v_mov_b32_e32 v4, v148
	v_mul_f32_e32 v149, 0x3f06c442, v81
	v_add_f32_e32 v7, v7, v5
	v_fmac_f32_e32 v4, 0xbe8c1d8e, v46
	v_mov_b32_e32 v5, v149
	v_add_f32_e32 v4, v4, v12
	v_fmac_f32_e32 v5, 0xbf59a7d5, v48
	v_mul_f32_e32 v150, 0x3f2c7751, v88
	v_add_f32_e32 v4, v5, v4
	v_mov_b32_e32 v5, v150
	v_fmac_f32_e32 v5, 0x3f3d2fb0, v52
	v_mul_f32_e32 v151, 0xbf65296c, v100
	v_add_f32_e32 v4, v5, v4
	v_mov_b32_e32 v5, v151
	;; [unrolled: 4-line block ×6, first 2 shown]
	v_fmac_f32_e32 v5, 0xbf1a4643, v75
	v_mul_f32_e32 v156, 0xbf763a35, v79
	v_add_f32_e32 v4, v5, v4
	v_fma_f32 v5, v47, s16, -v156
	v_mul_f32_e32 v157, 0x3f06c442, v86
	v_add_f32_e32 v5, v5, v13
	v_fma_f32 v8, v50, s18, -v157
	;; [unrolled: 3-line block ×8, first 2 shown]
	v_mul_f32_e32 v164, 0xbf4c4adb, v76
	v_add_f32_e32 v5, v8, v5
	v_mov_b32_e32 v8, v164
	v_mul_f32_e32 v165, 0x3f763a35, v81
	v_fmac_f32_e32 v8, 0xbf1a4643, v46
	v_mov_b32_e32 v9, v165
	v_add_f32_e32 v8, v8, v12
	v_fmac_f32_e32 v9, 0xbe8c1d8e, v48
	v_mul_f32_e32 v172, 0xbf4c4adb, v79
	v_add_f32_e32 v8, v9, v8
	v_fma_f32 v9, v47, s17, -v172
	v_mul_f32_e32 v173, 0x3f763a35, v86
	v_add_f32_e32 v9, v9, v13
	v_fma_f32 v10, v50, s16, -v173
	v_mul_f32_e32 v166, 0xbeb8f4ab, v88
	v_add_f32_e32 v9, v10, v9
	v_mov_b32_e32 v10, v166
	v_fmac_f32_e32 v10, 0x3f6eb680, v52
	v_mul_f32_e32 v174, 0xbeb8f4ab, v91
	v_add_f32_e32 v8, v10, v8
	v_fma_f32 v10, v54, s12, -v174
	v_mul_f32_e32 v167, 0xbf06c442, v100
	v_add_f32_e32 v9, v10, v9
	v_mov_b32_e32 v10, v167
	v_fmac_f32_e32 v10, 0xbf59a7d5, v56
	;; [unrolled: 7-line block ×6, first 2 shown]
	v_mul_f32_e32 v179, 0x3f65296c, v147
	v_mul_f32_e32 v180, 0xbf06c442, v76
	v_fma_f32 v11, v78, s14, -v179
	v_add_f32_e32 v10, v10, v8
	v_mov_b32_e32 v8, v180
	v_mul_f32_e32 v187, 0x3f65296c, v81
	v_add_f32_e32 v11, v11, v9
	v_fmac_f32_e32 v8, 0xbf59a7d5, v46
	v_mov_b32_e32 v9, v187
	v_add_f32_e32 v8, v8, v12
	v_fmac_f32_e32 v9, 0x3ee437d1, v48
	v_mul_f32_e32 v181, 0xbf7ee86f, v88
	v_add_f32_e32 v8, v9, v8
	v_mov_b32_e32 v9, v181
	v_fmac_f32_e32 v9, 0x3dbcf732, v52
	v_mul_f32_e32 v182, 0x3f4c4adb, v100
	v_add_f32_e32 v8, v9, v8
	v_mov_b32_e32 v9, v182
	;; [unrolled: 4-line block ×6, first 2 shown]
	v_fmac_f32_e32 v9, 0xbe8c1d8e, v75
	v_mul_f32_e32 v194, 0xbf06c442, v79
	v_add_f32_e32 v8, v9, v8
	v_fma_f32 v9, v47, s18, -v194
	v_mul_f32_e32 v195, 0x3f65296c, v86
	v_add_f32_e32 v9, v9, v13
	v_fma_f32 v85, v50, s14, -v195
	;; [unrolled: 3-line block ×8, first 2 shown]
	v_add_f32_e32 v9, v85, v9
	v_mul_lo_u16_e32 v235, 17, v234
	s_barrier
	s_and_saveexec_b64 s[4:5], s[0:1]
	s_cbranch_execz .LBB0_7
; %bb.6:
	v_mul_f32_e32 v253, 0xbe3c28d5, v79
	v_mov_b32_e32 v79, v253
	v_mul_f32_e32 v86, 0x3eb8f4ab, v86
	v_fmac_f32_e32 v79, 0xbf7ba420, v47
	v_mov_b32_e32 v196, v86
	v_mul_f32_e32 v254, 0xbf06c442, v91
	v_add_f32_e32 v79, v79, v13
	v_fmac_f32_e32 v196, 0x3f6eb680, v50
	v_mov_b32_e32 v91, v254
	v_add_f32_e32 v79, v196, v79
	v_fmac_f32_e32 v91, 0xbf59a7d5, v54
	v_mul_f32_e32 v255, 0x3f2c7751, v107
	v_add_f32_e32 v79, v91, v79
	v_mov_b32_e32 v91, v255
	v_fmac_f32_e32 v91, 0x3f3d2fb0, v58
	v_mul_f32_e32 v85, 0xbf4c4adb, v117
	v_add_f32_e32 v79, v91, v79
	v_mov_b32_e32 v91, v85
	;; [unrolled: 4-line block ×5, first 2 shown]
	v_fmac_f32_e32 v91, 0x3dbcf732, v78
	v_mul_f32_e32 v76, 0xbe3c28d5, v76
	v_add_f32_e32 v197, v91, v79
	v_fma_f32 v79, v46, s19, -v76
	v_mul_f32_e32 v81, 0x3eb8f4ab, v81
	v_add_f32_e32 v79, v79, v12
	v_fma_f32 v91, v48, s12, -v81
	;; [unrolled: 3-line block ×7, first 2 shown]
	v_mul_f32_e32 v145, 0x3f7ee86f, v145
	v_mul_f32_e32 v211, 0xbf59a7d5, v47
	v_add_f32_e32 v79, v91, v79
	v_fma_f32 v91, v75, s15, -v145
	v_mul_f32_e32 v225, 0x3ee437d1, v50
	v_add_f32_e32 v196, v91, v79
	v_add_f32_e32 v91, v194, v211
	v_mul_f32_e32 v239, 0x3dbcf732, v54
	v_add_f32_e32 v107, v195, v225
	v_add_f32_e32 v91, v91, v13
	;; [unrolled: 3-line block ×3, first 2 shown]
	v_mul_f32_e32 v224, 0x3ee437d1, v48
	v_add_f32_e32 v91, v107, v91
	v_sub_f32_e32 v107, v210, v180
	v_mul_f32_e32 v238, 0x3dbcf732, v52
	v_sub_f32_e32 v108, v224, v187
	v_add_f32_e32 v107, v107, v12
	v_mul_f32_e32 v252, 0xbf1a4643, v56
	v_add_f32_e32 v107, v108, v107
	v_sub_f32_e32 v108, v238, v181
	v_mul_f32_e32 v180, 0x3f6eb680, v60
	v_add_f32_e32 v107, v108, v107
	v_sub_f32_e32 v108, v252, v182
	v_add_f32_e32 v107, v108, v107
	v_sub_f32_e32 v108, v180, v183
	v_mul_f32_e32 v79, 0xbf1a4643, v58
	v_add_f32_e32 v107, v108, v107
	v_mul_f32_e32 v108, 0xbf7ba420, v67
	v_mul_f32_e32 v209, 0xbf1a4643, v47
	v_add_f32_e32 v79, v192, v79
	v_sub_f32_e32 v108, v108, v184
	v_mul_f32_e32 v223, 0xbe8c1d8e, v50
	v_add_f32_e32 v79, v79, v91
	v_mul_f32_e32 v91, 0x3f6eb680, v62
	v_add_f32_e32 v107, v108, v107
	;; [unrolled: 2-line block ×4, first 2 shown]
	v_sub_f32_e32 v108, v108, v185
	v_add_f32_e32 v173, v173, v223
	v_add_f32_e32 v172, v172, v13
	v_mul_f32_e32 v251, 0xbf59a7d5, v58
	v_add_f32_e32 v79, v91, v79
	v_mul_f32_e32 v91, 0xbf7ba420, v69
	;; [unrolled: 2-line block ×3, first 2 shown]
	v_add_f32_e32 v172, v173, v172
	v_add_f32_e32 v174, v174, v237
	v_mul_f32_e32 v208, 0xbf1a4643, v46
	v_add_f32_e32 v91, v190, v91
	v_mul_f32_e32 v118, 0x3dbcf732, v62
	v_sub_f32_e32 v185, v108, v186
	v_add_f32_e32 v172, v174, v172
	v_add_f32_e32 v175, v175, v251
	v_mul_f32_e32 v222, 0xbe8c1d8e, v48
	v_add_f32_e32 v79, v91, v79
	v_mul_f32_e32 v91, 0x3f3d2fb0, v73
	;; [unrolled: 2-line block ×3, first 2 shown]
	v_add_f32_e32 v172, v175, v172
	v_add_f32_e32 v118, v176, v118
	v_sub_f32_e32 v164, v208, v164
	v_mul_f32_e32 v236, 0x3f6eb680, v52
	v_add_f32_e32 v91, v189, v91
	v_add_f32_e32 v118, v118, v172
	;; [unrolled: 1-line block ×3, first 2 shown]
	v_sub_f32_e32 v165, v222, v165
	v_add_f32_e32 v164, v164, v12
	v_mul_f32_e32 v250, 0xbf59a7d5, v56
	v_add_f32_e32 v79, v91, v79
	v_mul_f32_e32 v91, 0xbe8c1d8e, v78
	;; [unrolled: 2-line block ×3, first 2 shown]
	v_add_f32_e32 v164, v165, v164
	v_sub_f32_e32 v166, v236, v166
	v_add_f32_e32 v91, v188, v91
	v_mul_f32_e32 v117, 0x3dbcf732, v60
	v_add_f32_e32 v177, v178, v177
	v_add_f32_e32 v164, v166, v164
	v_sub_f32_e32 v167, v250, v167
	v_add_f32_e32 v108, v91, v79
	v_mul_f32_e32 v91, 0x3f3d2fb0, v67
	v_add_f32_e32 v118, v177, v118
	v_mul_f32_e32 v177, 0x3ee437d1, v78
	v_add_f32_e32 v164, v167, v164
	v_sub_f32_e32 v117, v117, v168
	v_add_f32_e32 v177, v179, v177
	v_mul_f32_e32 v179, 0xbf7ba420, v71
	v_add_f32_e32 v117, v117, v164
	v_sub_f32_e32 v91, v91, v169
	v_add_f32_e32 v91, v91, v117
	v_mul_f32_e32 v117, 0x3ee437d1, v75
	v_sub_f32_e32 v170, v179, v170
	v_mul_f32_e32 v207, 0xbe8c1d8e, v47
	v_add_f32_e32 v91, v170, v91
	v_sub_f32_e32 v117, v117, v171
	v_mul_f32_e32 v221, 0xbf59a7d5, v50
	v_add_f32_e32 v117, v117, v91
	v_add_f32_e32 v91, v156, v207
	v_mul_f32_e32 v55, 0x3f3d2fb0, v54
	v_add_f32_e32 v91, v91, v13
	v_add_f32_e32 v156, v157, v221
	v_mul_f32_e32 v249, 0x3ee437d1, v58
	v_add_f32_e32 v91, v156, v91
	v_add_f32_e32 v156, v158, v55
	v_mul_f32_e32 v189, 0xbf7ba420, v62
	v_add_f32_e32 v91, v156, v91
	v_add_f32_e32 v156, v159, v249
	v_mul_f32_e32 v79, 0x3dbcf732, v69
	v_add_f32_e32 v91, v156, v91
	v_add_f32_e32 v156, v160, v189
	v_mul_f32_e32 v178, 0x3f6eb680, v73
	v_add_f32_e32 v91, v156, v91
	v_add_f32_e32 v79, v161, v79
	v_mul_f32_e32 v169, 0xbf1a4643, v78
	v_add_f32_e32 v79, v79, v91
	v_add_f32_e32 v91, v162, v178
	v_mul_f32_e32 v206, 0xbe8c1d8e, v46
	v_add_f32_e32 v79, v91, v79
	v_add_f32_e32 v91, v163, v169
	v_mul_f32_e32 v220, 0xbf59a7d5, v48
	v_add_f32_e32 v156, v91, v79
	v_sub_f32_e32 v79, v206, v148
	v_mul_f32_e32 v53, 0x3f3d2fb0, v52
	v_add_f32_e32 v79, v79, v12
	v_sub_f32_e32 v91, v220, v149
	v_mul_f32_e32 v248, 0x3ee437d1, v56
	v_add_f32_e32 v79, v91, v79
	v_sub_f32_e32 v91, v53, v150
	v_mul_f32_e32 v190, 0xbf7ba420, v60
	v_add_f32_e32 v79, v91, v79
	v_sub_f32_e32 v91, v248, v151
	v_mul_f32_e32 v186, 0x3dbcf732, v67
	v_add_f32_e32 v79, v91, v79
	v_sub_f32_e32 v91, v190, v152
	v_mul_f32_e32 v185, 0x3f6eb680, v71
	v_add_f32_e32 v79, v91, v79
	v_sub_f32_e32 v91, v186, v153
	v_mul_f32_e32 v164, 0xbf1a4643, v75
	v_add_f32_e32 v79, v91, v79
	v_sub_f32_e32 v91, v185, v154
	v_mul_f32_e32 v205, 0x3dbcf732, v47
	v_add_f32_e32 v79, v91, v79
	v_sub_f32_e32 v91, v164, v155
	v_mul_f32_e32 v219, 0xbf7ba420, v50
	v_add_f32_e32 v155, v91, v79
	v_add_f32_e32 v79, v134, v205
	v_mul_f32_e32 v198, 0xbe8c1d8e, v54
	v_add_f32_e32 v79, v79, v13
	v_add_f32_e32 v91, v135, v219
	v_mul_f32_e32 v247, 0x3f6eb680, v58
	v_add_f32_e32 v79, v91, v79
	v_add_f32_e32 v91, v138, v198
	v_mul_f32_e32 v130, 0x3ee437d1, v62
	v_add_f32_e32 v79, v91, v79
	v_add_f32_e32 v91, v140, v247
	v_mul_f32_e32 v184, 0xbf59a7d5, v69
	v_add_f32_e32 v79, v91, v79
	v_add_f32_e32 v91, v142, v130
	v_mul_f32_e32 v172, 0xbf1a4643, v73
	v_add_f32_e32 v79, v91, v79
	v_add_f32_e32 v91, v143, v184
	v_mul_f32_e32 v168, 0x3f3d2fb0, v78
	v_add_f32_e32 v79, v91, v79
	v_add_f32_e32 v91, v144, v172
	v_mul_f32_e32 v204, 0x3dbcf732, v46
	v_add_f32_e32 v79, v91, v79
	v_add_f32_e32 v91, v146, v168
	v_mul_f32_e32 v218, 0xbf7ba420, v48
	v_add_f32_e32 v130, v91, v79
	v_sub_f32_e32 v79, v204, v128
	v_mul_f32_e32 v232, 0xbe8c1d8e, v52
	v_add_f32_e32 v79, v79, v12
	v_sub_f32_e32 v91, v218, v129
	v_mul_f32_e32 v246, 0x3f6eb680, v56
	v_add_f32_e32 v79, v91, v79
	v_sub_f32_e32 v91, v232, v131
	v_mul_f32_e32 v192, 0x3ee437d1, v60
	v_add_f32_e32 v79, v91, v79
	v_sub_f32_e32 v91, v246, v132
	v_mul_f32_e32 v183, 0xbf59a7d5, v67
	v_add_f32_e32 v79, v91, v79
	v_sub_f32_e32 v91, v192, v133
	v_mul_f32_e32 v176, 0xbf1a4643, v71
	v_add_f32_e32 v79, v91, v79
	v_sub_f32_e32 v91, v183, v136
	v_mul_f32_e32 v167, 0x3f3d2fb0, v75
	v_add_f32_e32 v79, v91, v79
	;; [unrolled: 48-line block ×4, first 2 shown]
	v_sub_f32_e32 v89, v210, v99
	v_add_f32_e32 v79, v89, v79
	v_sub_f32_e32 v89, v165, v102
	v_mul_f32_e32 v53, 0x3f6eb680, v47
	v_add_f32_e32 v90, v89, v79
	v_add_f32_e32 v79, v51, v53
	v_mul_f32_e32 v51, 0x3f3d2fb0, v50
	v_mul_f32_e32 v227, 0x3ee437d1, v54
	v_add_f32_e32 v79, v79, v13
	v_add_f32_e32 v55, v226, v51
	v_add_f32_e32 v15, v15, v13
	v_add_f32_e32 v14, v14, v12
	v_mul_f32_e32 v241, 0x3dbcf732, v58
	v_add_f32_e32 v55, v55, v79
	v_add_f32_e32 v59, v59, v227
	v_add_f32_e32 v15, v21, v15
	v_add_f32_e32 v14, v20, v14
	;; [unrolled: 5-line block ×6, first 2 shown]
	v_add_f32_e32 v55, v59, v55
	v_add_f32_e32 v59, v87, v222
	v_mul_f32_e32 v51, 0x3f6eb680, v46
	v_add_f32_e32 v15, v35, v15
	v_add_f32_e32 v14, v34, v14
	;; [unrolled: 1-line block ×3, first 2 shown]
	v_sub_f32_e32 v55, v51, v57
	v_mul_f32_e32 v51, 0x3f3d2fb0, v48
	v_add_f32_e32 v15, v17, v15
	v_add_f32_e32 v14, v16, v14
	v_fma_f32 v16, v47, s19, -v253
	v_add_f32_e32 v55, v55, v12
	v_sub_f32_e32 v53, v51, v199
	v_mul_f32_e32 v51, 0x3ee437d1, v52
	v_add_f32_e32 v15, v19, v15
	v_add_f32_e32 v14, v18, v14
	;; [unrolled: 1-line block ×3, first 2 shown]
	v_fma_f32 v16, v50, s12, -v86
	v_fmac_f32_e32 v76, 0xbf7ba420, v46
	v_mul_f32_e32 v240, 0x3dbcf732, v56
	v_add_f32_e32 v53, v53, v55
	v_sub_f32_e32 v55, v51, v213
	v_add_f32_e32 v15, v25, v15
	v_add_f32_e32 v14, v24, v14
	v_add_f32_e32 v13, v16, v13
	v_fma_f32 v16, v54, s18, -v254
	v_add_f32_e32 v12, v76, v12
	v_fmac_f32_e32 v81, 0x3f6eb680, v48
	v_mul_f32_e32 v212, 0xbe8c1d8e, v60
	v_add_f32_e32 v53, v55, v53
	v_sub_f32_e32 v55, v240, v61
	v_add_f32_e32 v15, v27, v15
	v_add_f32_e32 v14, v26, v14
	v_add_f32_e32 v13, v16, v13
	v_fma_f32 v16, v58, s13, -v255
	v_add_f32_e32 v12, v81, v12
	;; [unrolled: 9-line block ×5, first 2 shown]
	v_fmac_f32_e32 v64, 0x3ee437d1, v67
	v_add_f32_e32 v51, v53, v51
	v_sub_f32_e32 v53, v208, v82
	v_add_f32_e32 v15, v43, v15
	v_add_f32_e32 v14, v42, v14
	;; [unrolled: 1-line block ×3, first 2 shown]
	v_fma_f32 v16, v78, s15, -v147
	v_add_f32_e32 v12, v64, v12
	v_fmac_f32_e32 v49, 0xbe8c1d8e, v71
	v_add_f32_e32 v79, v53, v51
	v_add_f32_e32 v15, v45, v15
	;; [unrolled: 1-line block ×5, first 2 shown]
	v_fmac_f32_e32 v145, 0x3dbcf732, v75
	v_lshlrev_b32_e32 v16, 3, v235
	v_add_f32_e32 v118, v177, v118
	v_add_f32_e32 v12, v145, v12
	ds_write2_b64 v16, v[14:15], v[79:80] offset1:1
	ds_write2_b64 v16, v[90:91], v[119:120] offset0:2 offset1:3
	ds_write2_b64 v16, v[129:130], v[155:156] offset0:4 offset1:5
	ds_write2_b64 v16, v[117:118], v[107:108] offset0:6 offset1:7
	ds_write2_b64 v16, v[196:197], v[12:13] offset0:8 offset1:9
	ds_write2_b64 v16, v[8:9], v[10:11] offset0:10 offset1:11
	ds_write2_b64 v16, v[4:5], v[6:7] offset0:12 offset1:13
	ds_write2_b64 v16, v[0:1], v[2:3] offset0:14 offset1:15
	ds_write_b64 v16, v[65:66] offset:128
.LBB0_7:
	s_or_b64 exec, exec, s[4:5]
	s_movk_i32 s12, 0xf1
	v_mul_lo_u16_sdwa v12, v234, s12 dst_sel:DWORD dst_unused:UNUSED_PAD src0_sel:BYTE_0 src1_sel:DWORD
	v_lshrrev_b16_e32 v50, 12, v12
	v_mul_lo_u16_e32 v12, 17, v50
	v_sub_u16_e32 v12, v234, v12
	v_mov_b32_e32 v49, s3
	v_and_b32_e32 v51, 0xff, v12
	s_movk_i32 s14, 0x48
	v_mov_b32_e32 v48, s2
	v_mad_u64_u32 v[28:29], s[2:3], v51, s14, v[48:49]
	s_load_dwordx4 s[4:7], s[6:7], 0x0
	s_waitcnt lgkmcnt(0)
	s_barrier
	global_load_dwordx4 v[24:27], v[28:29], off
	global_load_dwordx4 v[20:23], v[28:29], off offset:16
	global_load_dwordx4 v[16:19], v[28:29], off offset:32
	;; [unrolled: 1-line block ×3, first 2 shown]
	global_load_dwordx2 v[67:68], v[28:29], off offset:64
	v_add_u32_e32 v72, 0x800, v83
	ds_read2_b64 v[28:31], v83 offset1:170
	v_add_u32_e32 v74, 0x1400, v83
	v_add_u32_e32 v73, 0x1e00, v83
	;; [unrolled: 1-line block ×3, first 2 shown]
	ds_read2_b64 v[32:35], v72 offset0:84 offset1:254
	ds_read2_b64 v[36:39], v74 offset0:40 offset1:210
	;; [unrolled: 1-line block ×4, first 2 shown]
	s_mov_b32 s12, 0x3f737871
	s_mov_b32 s2, 0xbf737871
	;; [unrolled: 1-line block ×4, first 2 shown]
	v_mul_u32_u24_e32 v50, 0xaa, v50
	v_add_lshl_u32 v86, v50, v51, 3
	s_waitcnt vmcnt(0) lgkmcnt(0)
	s_barrier
	v_mul_f32_e32 v52, v31, v25
	v_mul_f32_e32 v53, v30, v25
	;; [unrolled: 1-line block ×12, first 2 shown]
	v_fma_f32 v52, v30, v24, -v52
	v_fmac_f32_e32 v53, v31, v24
	v_fma_f32 v30, v32, v26, -v54
	v_fma_f32 v31, v34, v20, -v56
	;; [unrolled: 1-line block ×5, first 2 shown]
	v_mul_f32_e32 v61, v38, v17
	v_mul_f32_e32 v63, v40, v19
	;; [unrolled: 1-line block ×4, first 2 shown]
	v_fmac_f32_e32 v57, v35, v20
	v_fma_f32 v35, v42, v12, -v64
	v_fmac_f32_e32 v69, v43, v12
	v_sub_f32_e32 v42, v30, v32
	v_sub_f32_e32 v43, v36, v34
	v_add_f32_e32 v44, v30, v36
	v_mul_f32_e32 v60, v39, v17
	v_mul_f32_e32 v77, v46, v68
	v_fmac_f32_e32 v59, v37, v22
	v_fmac_f32_e32 v61, v39, v16
	;; [unrolled: 1-line block ×4, first 2 shown]
	v_fma_f32 v37, v46, v67, -v76
	v_add_f32_e32 v39, v32, v34
	v_sub_f32_e32 v45, v32, v30
	v_sub_f32_e32 v46, v34, v36
	v_add_f32_e32 v42, v42, v43
	v_fma_f32 v43, -0.5, v44, v28
	v_fmac_f32_e32 v55, v33, v26
	v_fma_f32 v33, v38, v16, -v60
	v_add_f32_e32 v38, v28, v30
	v_sub_f32_e32 v41, v59, v63
	v_fma_f32 v39, -0.5, v39, v28
	v_add_f32_e32 v28, v45, v46
	v_mov_b32_e32 v45, v43
	v_sub_f32_e32 v40, v55, v75
	v_fmac_f32_e32 v43, 0x3f737871, v41
	v_fmac_f32_e32 v45, 0xbf737871, v41
	;; [unrolled: 1-line block ×6, first 2 shown]
	v_add_f32_e32 v28, v29, v55
	v_mov_b32_e32 v44, v39
	v_add_f32_e32 v28, v28, v59
	v_fmac_f32_e32 v39, 0xbf737871, v40
	v_fmac_f32_e32 v44, 0x3f737871, v40
	v_add_f32_e32 v28, v28, v63
	v_fmac_f32_e32 v39, 0xbf167918, v41
	v_fmac_f32_e32 v44, 0x3f167918, v41
	v_add_f32_e32 v41, v28, v75
	v_add_f32_e32 v28, v59, v63
	v_fmac_f32_e32 v77, v47, v67
	v_fma_f32 v47, -0.5, v28, v29
	v_add_f32_e32 v38, v38, v32
	v_sub_f32_e32 v28, v30, v36
	v_mov_b32_e32 v54, v47
	v_add_f32_e32 v38, v38, v34
	v_fmac_f32_e32 v54, 0xbf737871, v28
	v_sub_f32_e32 v30, v32, v34
	v_sub_f32_e32 v32, v55, v59
	;; [unrolled: 1-line block ×3, first 2 shown]
	v_fmac_f32_e32 v47, 0x3f737871, v28
	v_fmac_f32_e32 v54, 0xbf167918, v30
	v_add_f32_e32 v32, v32, v34
	v_fmac_f32_e32 v47, 0x3f167918, v30
	v_fmac_f32_e32 v54, 0x3e9e377a, v32
	;; [unrolled: 1-line block ×3, first 2 shown]
	v_add_f32_e32 v32, v55, v75
	v_fma_f32 v56, -0.5, v32, v29
	v_mov_b32_e32 v58, v56
	v_fmac_f32_e32 v58, 0x3f737871, v30
	v_fmac_f32_e32 v56, 0xbf737871, v30
	;; [unrolled: 1-line block ×4, first 2 shown]
	v_add_f32_e32 v28, v52, v31
	v_add_f32_e32 v28, v28, v33
	;; [unrolled: 1-line block ×5, first 2 shown]
	v_fmac_f32_e32 v39, 0x3e9e377a, v42
	v_fmac_f32_e32 v44, 0x3e9e377a, v42
	v_sub_f32_e32 v29, v59, v55
	v_sub_f32_e32 v32, v63, v75
	v_fma_f32 v42, -0.5, v28, v52
	v_add_f32_e32 v29, v29, v32
	v_sub_f32_e32 v28, v57, v77
	v_mov_b32_e32 v46, v42
	v_fmac_f32_e32 v58, 0x3e9e377a, v29
	v_fmac_f32_e32 v56, 0x3e9e377a, v29
	;; [unrolled: 1-line block ×3, first 2 shown]
	v_sub_f32_e32 v29, v61, v69
	v_sub_f32_e32 v30, v31, v33
	;; [unrolled: 1-line block ×3, first 2 shown]
	v_fmac_f32_e32 v42, 0xbf737871, v28
	v_fmac_f32_e32 v46, 0x3f167918, v29
	v_add_f32_e32 v30, v30, v32
	v_fmac_f32_e32 v42, 0xbf167918, v29
	v_fmac_f32_e32 v46, 0x3e9e377a, v30
	;; [unrolled: 1-line block ×3, first 2 shown]
	v_add_f32_e32 v30, v31, v37
	v_fmac_f32_e32 v52, -0.5, v30
	v_mov_b32_e32 v55, v52
	v_fmac_f32_e32 v55, 0xbf737871, v29
	v_fmac_f32_e32 v52, 0x3f737871, v29
	;; [unrolled: 1-line block ×4, first 2 shown]
	v_add_f32_e32 v28, v53, v57
	v_add_f32_e32 v28, v28, v61
	;; [unrolled: 1-line block ×5, first 2 shown]
	v_sub_f32_e32 v30, v33, v31
	v_sub_f32_e32 v32, v35, v37
	v_fma_f32 v60, -0.5, v28, v53
	v_add_f32_e32 v30, v30, v32
	v_sub_f32_e32 v28, v31, v37
	v_mov_b32_e32 v31, v60
	v_fmac_f32_e32 v55, 0x3e9e377a, v30
	v_fmac_f32_e32 v52, 0x3e9e377a, v30
	;; [unrolled: 1-line block ×3, first 2 shown]
	v_sub_f32_e32 v29, v33, v35
	v_sub_f32_e32 v30, v57, v61
	;; [unrolled: 1-line block ×3, first 2 shown]
	v_fmac_f32_e32 v60, 0x3f737871, v28
	v_fmac_f32_e32 v31, 0xbf167918, v29
	v_add_f32_e32 v30, v30, v32
	v_fmac_f32_e32 v60, 0x3f167918, v29
	v_fmac_f32_e32 v31, 0x3e9e377a, v30
	;; [unrolled: 1-line block ×3, first 2 shown]
	v_add_f32_e32 v30, v57, v77
	v_fmac_f32_e32 v53, -0.5, v30
	v_mov_b32_e32 v33, v53
	v_fmac_f32_e32 v33, 0x3f737871, v29
	v_sub_f32_e32 v30, v61, v57
	v_sub_f32_e32 v32, v69, v77
	v_fmac_f32_e32 v53, 0xbf737871, v29
	v_fmac_f32_e32 v33, 0xbf167918, v28
	v_add_f32_e32 v30, v30, v32
	v_fmac_f32_e32 v53, 0x3f167918, v28
	v_fmac_f32_e32 v33, 0x3e9e377a, v30
	;; [unrolled: 1-line block ×3, first 2 shown]
	v_mul_f32_e32 v57, 0x3f167918, v31
	v_mul_f32_e32 v61, 0x3f737871, v33
	;; [unrolled: 1-line block ×5, first 2 shown]
	v_add_f32_e32 v38, v38, v36
	v_fmac_f32_e32 v57, 0x3f4f1bbd, v46
	v_fmac_f32_e32 v61, 0x3e9e377a, v55
	v_fma_f32 v62, v53, s12, -v29
	v_mul_f32_e32 v29, 0x3f4f1bbd, v42
	v_fmac_f32_e32 v64, 0x3f4f1bbd, v31
	v_mul_f32_e32 v55, 0xbf737871, v55
	v_fma_f32 v52, v52, s2, -v35
	v_mul_f32_e32 v37, 0x3f4f1bbd, v60
	v_add_f32_e32 v28, v38, v40
	v_add_f32_e32 v30, v44, v57
	;; [unrolled: 1-line block ×3, first 2 shown]
	v_fma_f32 v63, v60, s13, -v29
	v_add_f32_e32 v29, v41, v59
	v_add_f32_e32 v31, v54, v64
	v_fmac_f32_e32 v55, 0x3e9e377a, v33
	v_fma_f32 v53, v42, s3, -v37
	v_sub_f32_e32 v38, v38, v40
	v_sub_f32_e32 v40, v44, v57
	;; [unrolled: 1-line block ×5, first 2 shown]
	v_add_f32_e32 v34, v43, v62
	v_add_f32_e32 v36, v39, v63
	;; [unrolled: 1-line block ×5, first 2 shown]
	v_sub_f32_e32 v46, v39, v63
	v_sub_f32_e32 v39, v41, v59
	;; [unrolled: 1-line block ×5, first 2 shown]
	ds_write2_b64 v86, v[28:29], v[30:31] offset1:17
	ds_write2_b64 v86, v[32:33], v[34:35] offset0:34 offset1:51
	ds_write2_b64 v86, v[36:37], v[38:39] offset0:68 offset1:85
	;; [unrolled: 1-line block ×4, first 2 shown]
	v_mad_u64_u32 v[44:45], s[14:15], v234, s14, v[48:49]
	s_waitcnt lgkmcnt(0)
	s_barrier
	global_load_dwordx4 v[40:43], v[44:45], off offset:1224
	global_load_dwordx4 v[36:39], v[44:45], off offset:1240
	;; [unrolled: 1-line block ×4, first 2 shown]
	global_load_dwordx2 v[69:70], v[44:45], off offset:1288
	ds_read2_b64 v[44:47], v83 offset1:170
	ds_read2_b64 v[48:51], v72 offset0:84 offset1:254
	ds_read2_b64 v[52:55], v74 offset0:40 offset1:210
	ds_read2_b64 v[56:59], v73 offset0:60 offset1:230
	ds_read2_b64 v[60:63], v71 offset0:80 offset1:250
	s_waitcnt vmcnt(4) lgkmcnt(4)
	v_mul_f32_e32 v75, v46, v41
	v_mul_f32_e32 v64, v47, v41
	v_fmac_f32_e32 v75, v47, v40
	s_waitcnt lgkmcnt(3)
	v_mul_f32_e32 v47, v48, v43
	v_fma_f32 v64, v46, v40, -v64
	v_mul_f32_e32 v46, v49, v43
	v_fmac_f32_e32 v47, v49, v42
	s_waitcnt vmcnt(3)
	v_mul_f32_e32 v49, v50, v37
	v_fma_f32 v46, v48, v42, -v46
	v_mul_f32_e32 v48, v51, v37
	v_fmac_f32_e32 v49, v51, v36
	s_waitcnt lgkmcnt(2)
	v_mul_f32_e32 v51, v52, v39
	v_fma_f32 v48, v50, v36, -v48
	v_mul_f32_e32 v50, v53, v39
	v_fmac_f32_e32 v51, v53, v38
	s_waitcnt vmcnt(2)
	v_mul_f32_e32 v53, v54, v33
	v_fma_f32 v50, v52, v38, -v50
	;; [unrolled: 10-line block ×4, first 2 shown]
	v_mul_f32_e32 v60, v63, v70
	v_fmac_f32_e32 v61, v63, v69
	v_add_f32_e32 v63, v50, v54
	v_fma_f32 v63, -0.5, v63, v44
	v_sub_f32_e32 v76, v47, v59
	v_mov_b32_e32 v77, v63
	v_fmac_f32_e32 v77, 0x3f737871, v76
	v_sub_f32_e32 v78, v51, v55
	v_sub_f32_e32 v79, v46, v50
	;; [unrolled: 1-line block ×3, first 2 shown]
	v_fmac_f32_e32 v63, 0xbf737871, v76
	v_fmac_f32_e32 v77, 0x3f167918, v78
	v_add_f32_e32 v79, v79, v80
	v_fmac_f32_e32 v63, 0xbf167918, v78
	v_fmac_f32_e32 v77, 0x3e9e377a, v79
	;; [unrolled: 1-line block ×3, first 2 shown]
	v_add_f32_e32 v79, v46, v58
	v_fma_f32 v79, -0.5, v79, v44
	v_mov_b32_e32 v80, v79
	v_fma_f32 v60, v62, v69, -v60
	v_add_f32_e32 v62, v44, v46
	v_fmac_f32_e32 v80, 0xbf737871, v78
	v_sub_f32_e32 v44, v50, v46
	v_sub_f32_e32 v81, v54, v58
	v_fmac_f32_e32 v79, 0x3f737871, v78
	v_fmac_f32_e32 v80, 0x3f167918, v76
	v_add_f32_e32 v44, v44, v81
	v_fmac_f32_e32 v79, 0xbf167918, v76
	v_fmac_f32_e32 v80, 0x3e9e377a, v44
	;; [unrolled: 1-line block ×3, first 2 shown]
	v_add_f32_e32 v44, v45, v47
	v_add_f32_e32 v44, v44, v51
	;; [unrolled: 1-line block ×5, first 2 shown]
	v_fma_f32 v78, -0.5, v44, v45
	v_add_f32_e32 v62, v62, v50
	v_sub_f32_e32 v44, v46, v58
	v_mov_b32_e32 v81, v78
	v_add_f32_e32 v62, v62, v54
	v_fmac_f32_e32 v81, 0xbf737871, v44
	v_sub_f32_e32 v46, v50, v54
	v_sub_f32_e32 v50, v47, v51
	;; [unrolled: 1-line block ×3, first 2 shown]
	v_fmac_f32_e32 v78, 0x3f737871, v44
	v_fmac_f32_e32 v81, 0xbf167918, v46
	v_add_f32_e32 v50, v50, v54
	v_fmac_f32_e32 v78, 0x3f167918, v46
	v_fmac_f32_e32 v81, 0x3e9e377a, v50
	;; [unrolled: 1-line block ×3, first 2 shown]
	v_add_f32_e32 v50, v47, v59
	v_fma_f32 v82, -0.5, v50, v45
	v_mov_b32_e32 v84, v82
	v_fmac_f32_e32 v84, 0x3f737871, v46
	v_fmac_f32_e32 v82, 0xbf737871, v46
	;; [unrolled: 1-line block ×4, first 2 shown]
	v_add_f32_e32 v44, v64, v48
	v_add_f32_e32 v44, v44, v52
	;; [unrolled: 1-line block ×5, first 2 shown]
	v_sub_f32_e32 v45, v51, v47
	v_sub_f32_e32 v47, v55, v59
	v_fma_f32 v55, -0.5, v44, v64
	v_add_f32_e32 v45, v45, v47
	v_sub_f32_e32 v44, v49, v61
	v_mov_b32_e32 v47, v55
	v_fmac_f32_e32 v84, 0x3e9e377a, v45
	v_fmac_f32_e32 v82, 0x3e9e377a, v45
	;; [unrolled: 1-line block ×3, first 2 shown]
	v_sub_f32_e32 v45, v53, v57
	v_sub_f32_e32 v46, v48, v52
	;; [unrolled: 1-line block ×3, first 2 shown]
	v_fmac_f32_e32 v55, 0xbf737871, v44
	v_fmac_f32_e32 v47, 0x3f167918, v45
	v_add_f32_e32 v46, v46, v50
	v_fmac_f32_e32 v55, 0xbf167918, v45
	v_fmac_f32_e32 v47, 0x3e9e377a, v46
	;; [unrolled: 1-line block ×3, first 2 shown]
	v_add_f32_e32 v46, v48, v60
	v_fmac_f32_e32 v64, -0.5, v46
	v_mov_b32_e32 v51, v64
	v_fmac_f32_e32 v51, 0xbf737871, v45
	v_fmac_f32_e32 v64, 0x3f737871, v45
	;; [unrolled: 1-line block ×4, first 2 shown]
	v_add_f32_e32 v44, v75, v49
	v_add_f32_e32 v44, v44, v53
	;; [unrolled: 1-line block ×6, first 2 shown]
	v_sub_f32_e32 v46, v52, v48
	v_sub_f32_e32 v50, v56, v60
	v_fma_f32 v58, -0.5, v44, v75
	v_add_f32_e32 v46, v46, v50
	v_sub_f32_e32 v44, v48, v60
	v_mov_b32_e32 v60, v58
	v_fmac_f32_e32 v51, 0x3e9e377a, v46
	v_fmac_f32_e32 v64, 0x3e9e377a, v46
	;; [unrolled: 1-line block ×3, first 2 shown]
	v_sub_f32_e32 v45, v52, v56
	v_sub_f32_e32 v46, v49, v53
	;; [unrolled: 1-line block ×3, first 2 shown]
	v_fmac_f32_e32 v58, 0x3f737871, v44
	v_fmac_f32_e32 v60, 0xbf167918, v45
	v_add_f32_e32 v46, v46, v48
	v_fmac_f32_e32 v58, 0x3f167918, v45
	v_fmac_f32_e32 v60, 0x3e9e377a, v46
	;; [unrolled: 1-line block ×3, first 2 shown]
	v_add_f32_e32 v46, v49, v61
	v_fmac_f32_e32 v75, -0.5, v46
	v_mov_b32_e32 v56, v75
	v_fmac_f32_e32 v56, 0x3f737871, v45
	v_sub_f32_e32 v46, v53, v49
	v_sub_f32_e32 v48, v57, v61
	v_fmac_f32_e32 v56, 0xbf167918, v44
	v_add_f32_e32 v46, v46, v48
	v_fmac_f32_e32 v75, 0xbf737871, v45
	v_fmac_f32_e32 v56, 0x3e9e377a, v46
	v_fmac_f32_e32 v75, 0x3f167918, v44
	v_fmac_f32_e32 v75, 0x3e9e377a, v46
	v_mul_f32_e32 v61, 0x3f737871, v56
	v_mul_f32_e32 v45, 0x3e9e377a, v64
	;; [unrolled: 1-line block ×3, first 2 shown]
	v_fmac_f32_e32 v61, 0x3e9e377a, v51
	v_fma_f32 v85, v75, s12, -v45
	v_mul_f32_e32 v45, 0x3f4f1bbd, v55
	v_mul_f32_e32 v88, 0xbf167918, v47
	;; [unrolled: 1-line block ×5, first 2 shown]
	v_fmac_f32_e32 v57, 0x3f4f1bbd, v47
	v_fma_f32 v87, v58, s13, -v45
	v_fmac_f32_e32 v88, 0x3f4f1bbd, v60
	v_fmac_f32_e32 v89, 0x3e9e377a, v56
	v_fma_f32 v64, v64, s2, -v51
	v_fma_f32 v75, v55, s3, -v53
	v_add_f32_e32 v44, v62, v54
	v_add_f32_e32 v46, v77, v57
	;; [unrolled: 1-line block ×10, first 2 shown]
	v_sub_f32_e32 v54, v62, v54
	v_sub_f32_e32 v56, v77, v57
	;; [unrolled: 1-line block ×10, first 2 shown]
	ds_write2_b64 v83, v[44:45], v[46:47] offset1:170
	ds_write2_b64 v72, v[48:49], v[50:51] offset0:84 offset1:254
	ds_write2_b64 v74, v[52:53], v[54:55] offset0:40 offset1:210
	ds_write2_b64 v73, v[56:57], v[58:59] offset0:60 offset1:230
	ds_write2_b64 v71, v[60:61], v[62:63] offset0:80 offset1:250
	s_waitcnt lgkmcnt(0)
	s_barrier
	s_and_saveexec_b64 s[2:3], s[0:1]
	s_cbranch_execz .LBB0_9
; %bb.8:
	v_mov_b32_e32 v64, s9
	v_add_co_u32_e32 v84, vcc, s8, v83
	v_addc_co_u32_e32 v64, vcc, 0, v64, vcc
	v_add_co_u32_e32 v73, vcc, 0x3520, v84
	v_addc_co_u32_e32 v74, vcc, 0, v64, vcc
	global_load_dwordx2 v[77:78], v[73:74], off offset:800
	v_add_co_u32_e32 v75, vcc, 0x3000, v84
	v_addc_co_u32_e32 v76, vcc, 0, v64, vcc
	global_load_dwordx2 v[79:80], v[75:76], off offset:1312
	global_load_dwordx2 v[81:82], v[73:74], off offset:1600
	;; [unrolled: 1-line block ×4, first 2 shown]
	s_movk_i32 s12, 0x4000
	v_add_co_u32_e32 v75, vcc, s12, v84
	v_addc_co_u32_e32 v76, vcc, 0, v64, vcc
	global_load_dwordx2 v[99:100], v[75:76], off offset:2016
	global_load_dwordx2 v[101:102], v[75:76], off offset:2816
	;; [unrolled: 1-line block ×4, first 2 shown]
	s_movk_i32 s12, 0x5000
	v_add_co_u32_e32 v73, vcc, s12, v84
	v_addc_co_u32_e32 v74, vcc, 0, v64, vcc
	global_load_dwordx2 v[107:108], v[73:74], off offset:320
	global_load_dwordx2 v[109:110], v[73:74], off offset:1120
	;; [unrolled: 1-line block ×5, first 2 shown]
	s_movk_i32 s12, 0x6000
	v_add_co_u32_e32 v87, vcc, s12, v84
	v_addc_co_u32_e32 v88, vcc, 0, v64, vcc
	global_load_dwordx2 v[117:118], v[87:88], off offset:224
	global_load_dwordx2 v[119:120], v[87:88], off offset:1024
	;; [unrolled: 1-line block ×3, first 2 shown]
	ds_read2_b64 v[73:76], v83 offset1:100
	v_add_u32_e32 v64, 0x400, v83
	v_add_u32_e32 v84, 0x1000, v83
	s_waitcnt vmcnt(16) lgkmcnt(0)
	v_mul_f32_e32 v85, v76, v78
	v_mul_f32_e32 v88, v75, v78
	s_waitcnt vmcnt(15)
	v_mul_f32_e32 v89, v74, v80
	v_mul_f32_e32 v78, v73, v80
	v_fma_f32 v87, v75, v77, -v85
	v_fmac_f32_e32 v88, v76, v77
	v_fma_f32 v77, v73, v79, -v89
	v_fmac_f32_e32 v78, v74, v79
	ds_write2_b64 v83, v[77:78], v[87:88] offset1:100
	ds_read2_b64 v[73:76], v64 offset0:72 offset1:172
	v_add_u32_e32 v85, 0x1800, v83
	ds_read2_b64 v[77:80], v72 offset0:144 offset1:244
	ds_read2_b64 v[87:90], v84 offset0:88 offset1:188
	;; [unrolled: 1-line block ×3, first 2 shown]
	s_waitcnt vmcnt(14) lgkmcnt(3)
	v_mul_f32_e32 v123, v74, v82
	v_mul_f32_e32 v124, v73, v82
	s_waitcnt vmcnt(13)
	v_mul_f32_e32 v125, v76, v96
	v_mul_f32_e32 v82, v75, v96
	s_waitcnt vmcnt(12) lgkmcnt(2)
	v_mul_f32_e32 v126, v78, v98
	v_mul_f32_e32 v96, v77, v98
	s_waitcnt vmcnt(9)
	v_mul_f32_e32 v127, v80, v104
	v_mul_f32_e32 v98, v79, v104
	s_waitcnt lgkmcnt(1)
	v_mul_f32_e32 v128, v88, v100
	v_mul_f32_e32 v104, v87, v100
	;; [unrolled: 1-line block ×4, first 2 shown]
	v_fma_f32 v123, v73, v81, -v123
	v_fmac_f32_e32 v124, v74, v81
	v_fma_f32 v81, v75, v95, -v125
	v_fmac_f32_e32 v82, v76, v95
	;; [unrolled: 2-line block ×6, first 2 shown]
	ds_write2_b64 v64, v[123:124], v[81:82] offset0:72 offset1:172
	ds_write2_b64 v72, v[95:96], v[97:98] offset0:144 offset1:244
	;; [unrolled: 1-line block ×3, first 2 shown]
	v_add_u32_e32 v82, 0x1c00, v83
	ds_read2_b64 v[72:75], v82 offset0:104 offset1:204
	s_waitcnt vmcnt(8) lgkmcnt(4)
	v_mul_f32_e32 v130, v92, v106
	v_mul_f32_e32 v102, v91, v106
	s_waitcnt vmcnt(7)
	v_mul_f32_e32 v64, v94, v108
	v_mul_f32_e32 v77, v93, v108
	v_fma_f32 v101, v91, v105, -v130
	v_fmac_f32_e32 v102, v92, v105
	v_fma_f32 v76, v93, v107, -v64
	v_fmac_f32_e32 v77, v94, v107
	v_add_u32_e32 v84, 0x2400, v83
	ds_write2_b64 v85, v[101:102], v[76:77] offset0:32 offset1:132
	s_waitcnt vmcnt(6) lgkmcnt(1)
	v_mul_f32_e32 v64, v73, v110
	v_mul_f32_e32 v81, v72, v110
	ds_read2_b64 v[76:79], v84 offset0:48 offset1:148
	v_fma_f32 v80, v72, v109, -v64
	v_fmac_f32_e32 v81, v73, v109
	s_waitcnt vmcnt(5)
	v_mul_f32_e32 v64, v75, v112
	v_mul_f32_e32 v73, v74, v112
	v_fma_f32 v72, v74, v111, -v64
	v_fmac_f32_e32 v73, v75, v111
	ds_write2_b64 v82, v[80:81], v[72:73] offset0:104 offset1:204
	ds_read2_b64 v[72:75], v71 offset0:120 offset1:220
	s_waitcnt vmcnt(4) lgkmcnt(2)
	v_mul_f32_e32 v64, v77, v114
	v_mul_f32_e32 v81, v76, v114
	v_fma_f32 v80, v76, v113, -v64
	v_fmac_f32_e32 v81, v77, v113
	s_waitcnt vmcnt(3)
	v_mul_f32_e32 v64, v79, v116
	v_mul_f32_e32 v77, v78, v116
	v_fma_f32 v76, v78, v115, -v64
	v_fmac_f32_e32 v77, v79, v115
	ds_write2_b64 v84, v[80:81], v[76:77] offset0:48 offset1:148
	s_waitcnt vmcnt(2) lgkmcnt(1)
	v_mul_f32_e32 v64, v73, v118
	v_mul_f32_e32 v77, v72, v118
	v_fma_f32 v76, v72, v117, -v64
	v_fmac_f32_e32 v77, v73, v117
	ds_read_b64 v[72:73], v83 offset:12800
	s_waitcnt vmcnt(1)
	v_mul_f32_e32 v64, v75, v120
	v_mul_f32_e32 v79, v74, v120
	v_fma_f32 v78, v74, v119, -v64
	v_fmac_f32_e32 v79, v75, v119
	s_waitcnt vmcnt(0) lgkmcnt(0)
	v_mul_f32_e32 v64, v73, v122
	ds_write2_b64 v71, v[76:77], v[78:79] offset0:120 offset1:220
	v_fma_f32 v71, v72, v121, -v64
	v_mul_f32_e32 v72, v72, v122
	v_fmac_f32_e32 v72, v73, v121
	ds_write_b64 v83, v[71:72] offset:12800
.LBB0_9:
	s_or_b64 exec, exec, s[2:3]
	s_waitcnt lgkmcnt(0)
	s_barrier
	s_and_saveexec_b64 s[2:3], s[0:1]
	s_cbranch_execz .LBB0_11
; %bb.10:
	v_add_u32_e32 v0, 0x400, v83
	ds_read2_b64 v[48:51], v0 offset0:72 offset1:172
	v_add_u32_e32 v0, 0x800, v83
	ds_read2_b64 v[52:55], v0 offset0:144 offset1:244
	;; [unrolled: 2-line block ×6, first 2 shown]
	v_add_u32_e32 v0, 0x2800, v83
	ds_read2_b64 v[44:47], v83 offset1:100
	ds_read2_b64 v[0:3], v0 offset0:120 offset1:220
	ds_read_b64 v[65:66], v83 offset:12800
.LBB0_11:
	s_or_b64 exec, exec, s[2:3]
	s_waitcnt lgkmcnt(0)
	s_barrier
	s_and_saveexec_b64 s[2:3], s[0:1]
	s_cbranch_execz .LBB0_13
; %bb.12:
	v_add_f32_e32 v64, v66, v47
	v_mul_f32_e32 v103, 0xbf7ba420, v64
	v_add_f32_e32 v84, v3, v49
	v_sub_f32_e32 v87, v46, v65
	v_mov_b32_e32 v71, v103
	v_mul_f32_e32 v104, 0x3f6eb680, v84
	v_fmac_f32_e32 v71, 0x3e3c28d5, v87
	v_sub_f32_e32 v88, v48, v2
	v_mov_b32_e32 v72, v104
	v_add_f32_e32 v85, v1, v51
	v_add_f32_e32 v71, v45, v71
	v_fmac_f32_e32 v72, 0xbeb8f4ab, v88
	v_mul_f32_e32 v105, 0xbf59a7d5, v85
	v_add_f32_e32 v71, v72, v71
	v_sub_f32_e32 v89, v50, v0
	v_mov_b32_e32 v72, v105
	v_add_f32_e32 v129, v7, v53
	v_fmac_f32_e32 v72, 0x3f06c442, v89
	v_mul_f32_e32 v106, 0x3f3d2fb0, v129
	v_add_f32_e32 v71, v72, v71
	v_sub_f32_e32 v90, v52, v6
	v_mov_b32_e32 v72, v106
	;; [unrolled: 6-line block ×6, first 2 shown]
	v_sub_f32_e32 v134, v47, v66
	v_fmac_f32_e32 v72, 0xbf7ee86f, v94
	v_mul_f32_e32 v111, 0xbe3c28d5, v134
	v_sub_f32_e32 v135, v49, v3
	v_add_f32_e32 v72, v72, v71
	v_add_f32_e32 v95, v65, v46
	v_mov_b32_e32 v71, v111
	v_mul_f32_e32 v112, 0x3eb8f4ab, v135
	v_fmac_f32_e32 v71, 0xbf7ba420, v95
	v_add_f32_e32 v96, v2, v48
	v_mov_b32_e32 v73, v112
	v_sub_f32_e32 v136, v51, v1
	v_add_f32_e32 v71, v44, v71
	v_fmac_f32_e32 v73, 0x3f6eb680, v96
	v_mul_f32_e32 v113, 0xbf06c442, v136
	v_add_f32_e32 v71, v73, v71
	v_add_f32_e32 v97, v0, v50
	v_mov_b32_e32 v73, v113
	v_sub_f32_e32 v137, v53, v7
	v_fmac_f32_e32 v73, 0xbf59a7d5, v97
	v_mul_f32_e32 v114, 0x3f2c7751, v137
	v_add_f32_e32 v71, v73, v71
	v_add_f32_e32 v98, v6, v52
	v_mov_b32_e32 v73, v114
	v_sub_f32_e32 v138, v55, v5
	;; [unrolled: 6-line block ×5, first 2 shown]
	v_fmac_f32_e32 v73, 0xbe8c1d8e, v101
	v_mul_f32_e32 v118, 0x3f7ee86f, v141
	v_add_f32_e32 v71, v73, v71
	v_add_f32_e32 v102, v62, v60
	v_mov_b32_e32 v73, v118
	v_fmac_f32_e32 v73, 0x3dbcf732, v102
	v_mul_f32_e32 v119, 0xbf59a7d5, v64
	v_add_f32_e32 v71, v73, v71
	v_mov_b32_e32 v73, v119
	v_mul_f32_e32 v120, 0x3ee437d1, v84
	v_fmac_f32_e32 v73, 0x3f06c442, v87
	v_mov_b32_e32 v74, v120
	v_add_f32_e32 v73, v45, v73
	v_fmac_f32_e32 v74, 0xbf65296c, v88
	v_mul_f32_e32 v121, 0x3dbcf732, v85
	v_add_f32_e32 v73, v74, v73
	v_mov_b32_e32 v74, v121
	v_fmac_f32_e32 v74, 0x3f7ee86f, v89
	v_mul_f32_e32 v122, 0xbf1a4643, v129
	v_add_f32_e32 v73, v74, v73
	v_mov_b32_e32 v74, v122
	v_fmac_f32_e32 v74, 0xbf4c4adb, v90
	v_mul_f32_e32 v123, 0x3f6eb680, v130
	v_add_f32_e32 v73, v74, v73
	v_mov_b32_e32 v74, v123
	v_fmac_f32_e32 v74, 0x3eb8f4ab, v91
	v_mul_f32_e32 v124, 0xbf7ba420, v131
	v_add_f32_e32 v73, v74, v73
	v_mov_b32_e32 v74, v124
	v_fmac_f32_e32 v74, 0x3e3c28d5, v92
	v_mul_f32_e32 v125, 0x3f3d2fb0, v132
	v_add_f32_e32 v73, v74, v73
	v_mov_b32_e32 v74, v125
	v_fmac_f32_e32 v74, 0xbf2c7751, v93
	v_mul_f32_e32 v126, 0xbe8c1d8e, v133
	v_add_f32_e32 v73, v74, v73
	v_mov_b32_e32 v74, v126
	v_fmac_f32_e32 v74, 0x3f763a35, v94
	v_mul_f32_e32 v142, 0xbf06c442, v134
	v_add_f32_e32 v74, v74, v73
	v_mov_b32_e32 v73, v142
	v_mul_f32_e32 v143, 0x3f65296c, v135
	v_fmac_f32_e32 v73, 0xbf59a7d5, v95
	v_mov_b32_e32 v75, v143
	v_add_f32_e32 v73, v44, v73
	v_fmac_f32_e32 v75, 0x3ee437d1, v96
	v_mul_f32_e32 v144, 0xbf7ee86f, v136
	v_add_f32_e32 v73, v75, v73
	v_mov_b32_e32 v75, v144
	v_fmac_f32_e32 v75, 0x3dbcf732, v97
	v_mul_f32_e32 v145, 0x3f4c4adb, v137
	v_add_f32_e32 v73, v75, v73
	v_mov_b32_e32 v75, v145
	v_fmac_f32_e32 v75, 0xbf1a4643, v98
	v_mul_f32_e32 v146, 0xbeb8f4ab, v138
	v_add_f32_e32 v73, v75, v73
	v_mov_b32_e32 v75, v146
	v_fmac_f32_e32 v75, 0x3f6eb680, v99
	v_mul_f32_e32 v147, 0xbe3c28d5, v139
	v_add_f32_e32 v73, v75, v73
	v_mov_b32_e32 v75, v147
	v_fmac_f32_e32 v75, 0xbf7ba420, v100
	v_mul_f32_e32 v148, 0x3f2c7751, v140
	v_add_f32_e32 v73, v75, v73
	v_mov_b32_e32 v75, v148
	v_fmac_f32_e32 v75, 0x3f3d2fb0, v101
	v_mul_f32_e32 v149, 0xbf763a35, v141
	;; [unrolled: 32-line block ×5, first 2 shown]
	v_add_f32_e32 v77, v78, v77
	v_mov_b32_e32 v78, v173
	v_fmac_f32_e32 v78, 0x3f4c4adb, v94
	v_mul_f32_e32 v174, 0xbf763a35, v134
	v_add_f32_e32 v78, v78, v77
	v_mov_b32_e32 v77, v174
	v_mul_f32_e32 v175, 0x3f06c442, v135
	v_fmac_f32_e32 v77, 0xbe8c1d8e, v95
	v_mov_b32_e32 v79, v175
	v_add_f32_e32 v77, v44, v77
	v_fmac_f32_e32 v79, 0xbf59a7d5, v96
	v_mul_f32_e32 v176, 0x3f2c7751, v136
	v_add_f32_e32 v47, v47, v45
	v_add_f32_e32 v77, v79, v77
	v_mov_b32_e32 v79, v176
	v_add_f32_e32 v47, v49, v47
	v_fmac_f32_e32 v79, 0x3f3d2fb0, v97
	v_mul_f32_e32 v177, 0xbf65296c, v137
	v_add_f32_e32 v47, v51, v47
	v_add_f32_e32 v77, v79, v77
	;; [unrolled: 6-line block ×7, first 2 shown]
	v_mov_b32_e32 v79, v182
	v_mul_f32_e32 v183, 0xbf7ba420, v84
	v_add_f32_e32 v1, v1, v5
	v_fmac_f32_e32 v79, 0x3f7ee86f, v87
	v_mov_b32_e32 v80, v183
	v_add_f32_e32 v1, v3, v1
	v_add_f32_e32 v3, v46, v44
	;; [unrolled: 1-line block ×3, first 2 shown]
	v_fmac_f32_e32 v80, 0x3e3c28d5, v88
	v_mul_f32_e32 v184, 0xbe8c1d8e, v85
	v_add_f32_e32 v3, v48, v3
	v_add_f32_e32 v79, v80, v79
	v_mov_b32_e32 v80, v184
	v_add_f32_e32 v3, v50, v3
	v_fmac_f32_e32 v80, 0xbf763a35, v89
	v_mul_f32_e32 v185, 0x3f6eb680, v129
	v_add_f32_e32 v3, v52, v3
	v_add_f32_e32 v79, v80, v79
	v_mov_b32_e32 v80, v185
	v_add_f32_e32 v3, v54, v3
	;; [unrolled: 6-line block ×6, first 2 shown]
	v_fmac_f32_e32 v80, 0xbf2c7751, v94
	v_mul_f32_e32 v190, 0xbf7ee86f, v134
	v_add_f32_e32 v0, v0, v3
	v_fmac_f32_e32 v103, 0xbe3c28d5, v87
	v_add_f32_e32 v80, v80, v79
	v_mov_b32_e32 v79, v190
	v_mul_f32_e32 v191, 0xbe3c28d5, v135
	v_add_f32_e32 v0, v2, v0
	v_add_f32_e32 v2, v45, v103
	v_fmac_f32_e32 v104, 0x3eb8f4ab, v88
	v_fmac_f32_e32 v79, 0x3dbcf732, v95
	v_mov_b32_e32 v81, v191
	v_add_f32_e32 v2, v104, v2
	v_fmac_f32_e32 v105, 0xbf06c442, v89
	v_add_f32_e32 v79, v44, v79
	v_fmac_f32_e32 v81, 0xbf7ba420, v96
	v_mul_f32_e32 v192, 0x3f763a35, v136
	v_add_f32_e32 v2, v105, v2
	v_fmac_f32_e32 v106, 0x3f2c7751, v90
	v_add_f32_e32 v79, v81, v79
	v_mov_b32_e32 v81, v192
	v_add_f32_e32 v2, v106, v2
	v_fmac_f32_e32 v107, 0xbf4c4adb, v91
	v_fmac_f32_e32 v81, 0xbe8c1d8e, v97
	v_mul_f32_e32 v193, 0x3eb8f4ab, v137
	v_add_f32_e32 v2, v107, v2
	v_fmac_f32_e32 v108, 0x3f65296c, v92
	v_add_f32_e32 v79, v81, v79
	v_mov_b32_e32 v81, v193
	v_add_f32_e32 v2, v108, v2
	v_fmac_f32_e32 v109, 0xbf763a35, v93
	s_mov_b32 s12, 0xbf7ba420
	v_fmac_f32_e32 v81, 0x3f6eb680, v98
	v_mul_f32_e32 v194, 0xbf65296c, v138
	v_add_f32_e32 v2, v109, v2
	v_fmac_f32_e32 v110, 0x3f7ee86f, v94
	s_mov_b32 s14, 0x3f6eb680
	v_add_f32_e32 v79, v81, v79
	v_mov_b32_e32 v81, v194
	v_add_f32_e32 v3, v110, v2
	v_fma_f32 v2, v95, s12, -v111
	s_mov_b32 s13, 0xbf59a7d5
	v_fmac_f32_e32 v81, 0x3ee437d1, v99
	v_mul_f32_e32 v195, 0xbf06c442, v139
	v_add_f32_e32 v2, v44, v2
	v_fma_f32 v4, v96, s14, -v112
	s_mov_b32 s16, 0x3f3d2fb0
	v_add_f32_e32 v79, v81, v79
	v_mov_b32_e32 v81, v195
	v_add_f32_e32 v2, v4, v2
	v_fma_f32 v4, v97, s13, -v113
	s_mov_b32 s15, 0xbf1a4643
	v_fmac_f32_e32 v81, 0xbf59a7d5, v100
	v_mul_f32_e32 v196, 0x3f4c4adb, v140
	v_add_f32_e32 v2, v4, v2
	v_fma_f32 v4, v98, s16, -v114
	;; [unrolled: 10-line block ×3, first 2 shown]
	s_mov_b32 s19, 0x3dbcf732
	v_add_f32_e32 v79, v81, v79
	v_mov_b32_e32 v81, v197
	v_add_f32_e32 v2, v4, v2
	v_fma_f32 v4, v101, s18, -v117
	v_fmac_f32_e32 v81, 0x3f3d2fb0, v102
	v_mul_f32_e32 v198, 0x3ee437d1, v64
	v_add_f32_e32 v2, v4, v2
	v_fma_f32 v4, v102, s19, -v118
	v_fmac_f32_e32 v119, 0xbf06c442, v87
	v_add_f32_e32 v79, v81, v79
	v_mov_b32_e32 v81, v198
	v_mul_f32_e32 v199, 0xbf1a4643, v84
	v_add_f32_e32 v2, v4, v2
	v_add_f32_e32 v4, v45, v119
	v_fmac_f32_e32 v120, 0x3f65296c, v88
	v_fmac_f32_e32 v81, 0x3f65296c, v87
	v_mov_b32_e32 v82, v199
	v_add_f32_e32 v4, v120, v4
	v_fmac_f32_e32 v121, 0xbf7ee86f, v89
	v_add_f32_e32 v81, v45, v81
	v_fmac_f32_e32 v82, 0x3f4c4adb, v88
	v_mul_f32_e32 v200, 0xbf7ba420, v85
	v_add_f32_e32 v4, v121, v4
	v_fmac_f32_e32 v122, 0x3f4c4adb, v90
	v_add_f32_e32 v81, v82, v81
	v_mov_b32_e32 v82, v200
	v_add_f32_e32 v4, v122, v4
	v_fmac_f32_e32 v123, 0xbeb8f4ab, v91
	v_fmac_f32_e32 v82, 0xbe3c28d5, v89
	v_mul_f32_e32 v201, 0xbe8c1d8e, v129
	v_add_f32_e32 v4, v123, v4
	v_fmac_f32_e32 v124, 0xbe3c28d5, v92
	v_add_f32_e32 v81, v82, v81
	v_mov_b32_e32 v82, v201
	v_add_f32_e32 v4, v124, v4
	v_fmac_f32_e32 v125, 0x3f2c7751, v93
	v_fmac_f32_e32 v82, 0xbf763a35, v90
	v_mul_f32_e32 v202, 0x3f3d2fb0, v130
	v_add_f32_e32 v4, v125, v4
	v_fmac_f32_e32 v126, 0xbf763a35, v94
	v_add_f32_e32 v81, v82, v81
	v_mov_b32_e32 v82, v202
	v_add_f32_e32 v5, v126, v4
	v_fma_f32 v4, v95, s13, -v142
	v_fmac_f32_e32 v82, 0xbf2c7751, v91
	v_mul_f32_e32 v203, 0x3f6eb680, v131
	v_add_f32_e32 v4, v44, v4
	v_fma_f32 v6, v96, s17, -v143
	v_add_f32_e32 v81, v82, v81
	v_mov_b32_e32 v82, v203
	v_add_f32_e32 v4, v6, v4
	v_fma_f32 v6, v97, s19, -v144
	v_fmac_f32_e32 v82, 0x3eb8f4ab, v92
	v_mul_f32_e32 v204, 0x3dbcf732, v132
	v_add_f32_e32 v4, v6, v4
	v_fma_f32 v6, v98, s15, -v145
	v_add_f32_e32 v81, v82, v81
	v_mov_b32_e32 v82, v204
	v_add_f32_e32 v4, v6, v4
	v_fma_f32 v6, v99, s14, -v146
	v_fmac_f32_e32 v82, 0x3f7ee86f, v93
	v_mul_f32_e32 v205, 0xbf59a7d5, v133
	v_add_f32_e32 v4, v6, v4
	v_fma_f32 v6, v100, s12, -v147
	v_add_f32_e32 v81, v82, v81
	v_mov_b32_e32 v82, v205
	v_add_f32_e32 v4, v6, v4
	v_fma_f32 v6, v101, s16, -v148
	v_fmac_f32_e32 v82, 0x3f06c442, v94
	v_mul_f32_e32 v206, 0xbf65296c, v134
	v_add_f32_e32 v4, v6, v4
	v_fma_f32 v6, v102, s18, -v149
	v_fmac_f32_e32 v150, 0xbf4c4adb, v87
	v_add_f32_e32 v82, v82, v81
	v_mov_b32_e32 v81, v206
	v_mul_f32_e32 v207, 0xbf4c4adb, v135
	v_add_f32_e32 v4, v6, v4
	v_add_f32_e32 v6, v45, v150
	v_fmac_f32_e32 v151, 0x3f763a35, v88
	v_fmac_f32_e32 v81, 0x3ee437d1, v95
	v_mov_b32_e32 v127, v207
	v_add_f32_e32 v6, v151, v6
	v_fmac_f32_e32 v152, 0xbeb8f4ab, v89
	v_add_f32_e32 v81, v44, v81
	v_fmac_f32_e32 v127, 0xbf1a4643, v96
	v_mul_f32_e32 v208, 0x3e3c28d5, v136
	v_add_f32_e32 v6, v152, v6
	v_fmac_f32_e32 v153, 0xbf06c442, v90
	v_add_f32_e32 v81, v127, v81
	v_mov_b32_e32 v127, v208
	v_add_f32_e32 v6, v153, v6
	v_fmac_f32_e32 v154, 0x3f7ee86f, v91
	v_fmac_f32_e32 v127, 0xbf7ba420, v97
	v_mul_f32_e32 v209, 0x3f763a35, v137
	v_add_f32_e32 v6, v154, v6
	v_fmac_f32_e32 v155, 0xbf2c7751, v92
	v_add_f32_e32 v81, v127, v81
	v_mov_b32_e32 v127, v209
	v_add_f32_e32 v6, v155, v6
	v_fmac_f32_e32 v156, 0xbe3c28d5, v93
	v_fmac_f32_e32 v127, 0xbe8c1d8e, v98
	v_mul_f32_e32 v210, 0x3f2c7751, v138
	v_add_f32_e32 v6, v156, v6
	v_fmac_f32_e32 v157, 0x3f65296c, v94
	v_add_f32_e32 v81, v127, v81
	v_mov_b32_e32 v127, v210
	v_add_f32_e32 v7, v157, v6
	v_fma_f32 v6, v95, s15, -v158
	v_fmac_f32_e32 v127, 0x3f3d2fb0, v99
	v_mul_f32_e32 v211, 0xbeb8f4ab, v139
	v_add_f32_e32 v6, v44, v6
	v_fma_f32 v8, v96, s18, -v159
	v_add_f32_e32 v81, v127, v81
	v_mov_b32_e32 v127, v211
	v_add_f32_e32 v6, v8, v6
	v_fma_f32 v8, v97, s14, -v160
	v_fmac_f32_e32 v127, 0x3f6eb680, v100
	v_mul_f32_e32 v212, 0xbf7ee86f, v140
	v_add_f32_e32 v6, v8, v6
	v_fma_f32 v8, v98, s13, -v161
	v_add_f32_e32 v81, v127, v81
	v_mov_b32_e32 v127, v212
	v_add_f32_e32 v6, v8, v6
	v_fma_f32 v8, v99, s19, -v162
	v_fmac_f32_e32 v127, 0x3dbcf732, v101
	v_mul_f32_e32 v213, 0xbf06c442, v141
	v_add_f32_e32 v6, v8, v6
	v_fma_f32 v8, v100, s16, -v163
	;; [unrolled: 64-line block ×3, first 2 shown]
	v_add_f32_e32 v127, v128, v127
	v_mov_b32_e32 v128, v221
	v_add_f32_e32 v8, v10, v8
	v_fma_f32 v10, v101, s14, -v180
	v_fmac_f32_e32 v128, 0xbeb8f4ab, v94
	v_mul_f32_e32 v222, 0xbf2c7751, v134
	v_add_f32_e32 v8, v10, v8
	v_fma_f32 v10, v102, s15, -v181
	v_fmac_f32_e32 v182, 0xbf7ee86f, v87
	v_add_f32_e32 v128, v128, v127
	v_mov_b32_e32 v127, v222
	v_mul_f32_e32 v223, 0xbf7ee86f, v135
	v_add_f32_e32 v8, v10, v8
	v_add_f32_e32 v10, v45, v182
	v_fmac_f32_e32 v183, 0xbe3c28d5, v88
	v_fmac_f32_e32 v127, 0x3f3d2fb0, v95
	v_mov_b32_e32 v224, v223
	v_add_f32_e32 v10, v183, v10
	v_fmac_f32_e32 v184, 0x3f763a35, v89
	v_add_f32_e32 v127, v44, v127
	v_fmac_f32_e32 v224, 0x3dbcf732, v96
	;; [unrolled: 2-line block ×3, first 2 shown]
	v_add_f32_e32 v127, v224, v127
	v_mul_f32_e32 v224, 0xbf4c4adb, v136
	v_add_f32_e32 v10, v185, v10
	v_fmac_f32_e32 v186, 0xbf65296c, v91
	v_mov_b32_e32 v225, v224
	v_add_f32_e32 v10, v186, v10
	v_fmac_f32_e32 v187, 0xbf06c442, v92
	v_fmac_f32_e32 v225, 0xbf1a4643, v97
	v_add_f32_e32 v10, v187, v10
	v_fmac_f32_e32 v188, 0x3f4c4adb, v93
	v_add_f32_e32 v127, v225, v127
	v_mul_f32_e32 v225, 0xbe3c28d5, v137
	v_add_f32_e32 v10, v188, v10
	v_fmac_f32_e32 v189, 0x3f2c7751, v94
	v_mov_b32_e32 v226, v225
	v_add_f32_e32 v11, v189, v10
	v_fma_f32 v10, v95, s19, -v190
	v_fmac_f32_e32 v226, 0xbf7ba420, v98
	v_add_f32_e32 v10, v44, v10
	v_fma_f32 v46, v96, s12, -v191
	v_add_f32_e32 v127, v226, v127
	v_mul_f32_e32 v226, 0x3f06c442, v138
	v_add_f32_e32 v10, v46, v10
	v_fma_f32 v46, v97, s18, -v192
	v_mov_b32_e32 v227, v226
	v_add_f32_e32 v10, v46, v10
	v_fma_f32 v46, v98, s14, -v193
	v_fmac_f32_e32 v227, 0xbf59a7d5, v99
	v_add_f32_e32 v10, v46, v10
	v_fma_f32 v46, v99, s17, -v194
	v_add_f32_e32 v127, v227, v127
	v_mul_f32_e32 v227, 0x3f763a35, v139
	v_add_f32_e32 v10, v46, v10
	v_fma_f32 v46, v100, s13, -v195
	v_mov_b32_e32 v228, v227
	v_add_f32_e32 v10, v46, v10
	v_fma_f32 v46, v101, s15, -v196
	v_fmac_f32_e32 v228, 0xbe8c1d8e, v100
	v_add_f32_e32 v10, v46, v10
	v_fma_f32 v46, v102, s16, -v197
	v_fmac_f32_e32 v198, 0xbf65296c, v87
	v_add_f32_e32 v127, v228, v127
	v_mul_f32_e32 v228, 0x3f65296c, v140
	v_add_f32_e32 v10, v46, v10
	v_add_f32_e32 v46, v45, v198
	v_fmac_f32_e32 v199, 0xbf4c4adb, v88
	v_mov_b32_e32 v229, v228
	v_add_f32_e32 v46, v199, v46
	v_fmac_f32_e32 v200, 0x3e3c28d5, v89
	v_fmac_f32_e32 v229, 0x3ee437d1, v101
	v_add_f32_e32 v46, v200, v46
	v_fmac_f32_e32 v201, 0x3f763a35, v90
	v_add_f32_e32 v127, v229, v127
	v_mul_f32_e32 v229, 0x3eb8f4ab, v141
	v_add_f32_e32 v46, v201, v46
	v_fmac_f32_e32 v202, 0x3f2c7751, v91
	v_mov_b32_e32 v230, v229
	v_add_f32_e32 v46, v202, v46
	v_fmac_f32_e32 v203, 0xbeb8f4ab, v92
	v_fmac_f32_e32 v230, 0x3f6eb680, v102
	v_mul_f32_e32 v64, 0x3f6eb680, v64
	v_add_f32_e32 v46, v203, v46
	v_fmac_f32_e32 v204, 0xbf7ee86f, v93
	v_add_f32_e32 v127, v230, v127
	v_mov_b32_e32 v230, v64
	v_mul_f32_e32 v84, 0x3f3d2fb0, v84
	v_add_f32_e32 v46, v204, v46
	v_fmac_f32_e32 v205, 0xbf06c442, v94
	v_fmac_f32_e32 v230, 0x3eb8f4ab, v87
	v_mov_b32_e32 v231, v84
	v_add_f32_e32 v47, v205, v46
	v_fma_f32 v46, v95, s17, -v206
	v_add_f32_e32 v230, v45, v230
	v_fmac_f32_e32 v231, 0x3f2c7751, v88
	v_mul_f32_e32 v85, 0x3ee437d1, v85
	v_add_f32_e32 v46, v44, v46
	v_fma_f32 v48, v96, s15, -v207
	v_add_f32_e32 v230, v231, v230
	v_mov_b32_e32 v231, v85
	v_add_f32_e32 v46, v48, v46
	v_fma_f32 v48, v97, s12, -v208
	v_fmac_f32_e32 v231, 0x3f65296c, v89
	v_add_f32_e32 v46, v48, v46
	v_fma_f32 v48, v98, s18, -v209
	v_add_f32_e32 v230, v231, v230
	v_mul_f32_e32 v231, 0x3dbcf732, v129
	v_add_f32_e32 v46, v48, v46
	v_fma_f32 v48, v99, s16, -v210
	v_mov_b32_e32 v129, v231
	v_add_f32_e32 v46, v48, v46
	v_fma_f32 v48, v100, s14, -v211
	v_fmac_f32_e32 v129, 0x3f7ee86f, v90
	v_add_f32_e32 v46, v48, v46
	v_fma_f32 v48, v101, s19, -v212
	v_add_f32_e32 v129, v129, v230
	v_mul_f32_e32 v230, 0xbe8c1d8e, v130
	v_add_f32_e32 v46, v48, v46
	v_fma_f32 v48, v102, s13, -v213
	v_fmac_f32_e32 v214, 0xbf2c7751, v87
	v_mov_b32_e32 v130, v230
	v_add_f32_e32 v46, v48, v46
	v_add_f32_e32 v48, v45, v214
	v_fmac_f32_e32 v215, 0xbf7ee86f, v88
	v_fmac_f32_e32 v130, 0x3f763a35, v91
	v_mul_f32_e32 v131, 0xbf1a4643, v131
	v_add_f32_e32 v48, v215, v48
	v_fmac_f32_e32 v216, 0xbf4c4adb, v89
	v_add_f32_e32 v129, v130, v129
	v_mov_b32_e32 v130, v131
	v_add_f32_e32 v48, v216, v48
	v_fmac_f32_e32 v217, 0xbe3c28d5, v90
	v_fmac_f32_e32 v130, 0x3f4c4adb, v92
	v_mul_f32_e32 v132, 0xbf59a7d5, v132
	v_add_f32_e32 v48, v217, v48
	v_fmac_f32_e32 v218, 0x3f06c442, v91
	v_add_f32_e32 v129, v130, v129
	v_mov_b32_e32 v130, v132
	;; [unrolled: 8-line block ×3, first 2 shown]
	v_add_f32_e32 v48, v220, v48
	v_fmac_f32_e32 v221, 0x3eb8f4ab, v94
	v_fmac_f32_e32 v130, 0x3e3c28d5, v94
	v_mul_f32_e32 v134, 0xbeb8f4ab, v134
	v_add_f32_e32 v49, v221, v48
	v_fma_f32 v48, v95, s16, -v222
	v_add_f32_e32 v130, v130, v129
	v_mov_b32_e32 v129, v134
	v_mul_f32_e32 v135, 0xbf2c7751, v135
	v_add_f32_e32 v48, v44, v48
	v_fma_f32 v50, v96, s19, -v223
	v_fmac_f32_e32 v129, 0x3f6eb680, v95
	v_mov_b32_e32 v232, v135
	v_add_f32_e32 v48, v50, v48
	v_fma_f32 v50, v97, s15, -v224
	v_add_f32_e32 v129, v44, v129
	v_fmac_f32_e32 v232, 0x3f3d2fb0, v96
	v_mul_f32_e32 v136, 0xbf65296c, v136
	v_add_f32_e32 v48, v50, v48
	v_fma_f32 v50, v98, s12, -v225
	v_add_f32_e32 v129, v232, v129
	v_mov_b32_e32 v232, v136
	v_add_f32_e32 v48, v50, v48
	v_fma_f32 v50, v99, s13, -v226
	v_fmac_f32_e32 v232, 0x3ee437d1, v97
	v_mul_f32_e32 v137, 0xbf7ee86f, v137
	v_add_f32_e32 v48, v50, v48
	v_fma_f32 v50, v100, s18, -v227
	v_add_f32_e32 v129, v232, v129
	v_mov_b32_e32 v232, v137
	v_add_f32_e32 v48, v50, v48
	v_fma_f32 v50, v101, s17, -v228
	;; [unrolled: 8-line block ×3, first 2 shown]
	v_fmac_f32_e32 v232, 0xbe8c1d8e, v99
	v_mul_f32_e32 v139, 0xbf4c4adb, v139
	v_fmac_f32_e32 v64, 0xbeb8f4ab, v87
	v_add_f32_e32 v44, v44, v50
	v_fma_f32 v50, v96, s16, -v135
	v_add_f32_e32 v129, v232, v129
	v_mov_b32_e32 v232, v139
	v_add_f32_e32 v45, v45, v64
	v_fmac_f32_e32 v84, 0xbf2c7751, v88
	v_add_f32_e32 v44, v50, v44
	v_fma_f32 v50, v97, s17, -v136
	v_fmac_f32_e32 v232, 0xbf1a4643, v100
	v_mul_f32_e32 v140, 0xbf06c442, v140
	v_add_f32_e32 v45, v84, v45
	v_fmac_f32_e32 v85, 0xbf65296c, v89
	v_add_f32_e32 v44, v50, v44
	v_fma_f32 v50, v98, s19, -v137
	v_add_f32_e32 v129, v232, v129
	v_mov_b32_e32 v232, v140
	v_add_f32_e32 v45, v85, v45
	v_fmac_f32_e32 v231, 0xbf7ee86f, v90
	v_add_f32_e32 v44, v50, v44
	v_fma_f32 v50, v99, s18, -v138
	v_fmac_f32_e32 v232, 0xbf59a7d5, v101
	v_mul_f32_e32 v141, 0xbe3c28d5, v141
	v_add_f32_e32 v45, v231, v45
	v_fmac_f32_e32 v230, 0xbf763a35, v91
	v_add_f32_e32 v44, v50, v44
	v_fma_f32 v50, v100, s15, -v139
	v_add_f32_e32 v129, v232, v129
	v_mov_b32_e32 v232, v141
	v_add_f32_e32 v45, v230, v45
	v_fmac_f32_e32 v131, 0xbf4c4adb, v92
	v_add_f32_e32 v44, v50, v44
	v_fma_f32 v50, v101, s13, -v140
	v_fmac_f32_e32 v232, 0xbf7ba420, v102
	v_add_f32_e32 v45, v131, v45
	v_fmac_f32_e32 v132, 0xbf06c442, v93
	v_add_f32_e32 v44, v50, v44
	v_fma_f32 v50, v102, s12, -v141
	v_add_f32_e32 v129, v232, v129
	v_add_f32_e32 v1, v66, v1
	;; [unrolled: 1-line block ×4, first 2 shown]
	v_fmac_f32_e32 v133, 0xbe3c28d5, v94
	v_add_f32_e32 v44, v50, v44
	v_lshlrev_b32_e32 v50, 3, v235
	v_add_f32_e32 v45, v133, v45
	ds_write2_b64 v50, v[0:1], v[129:130] offset1:1
	ds_write2_b64 v50, v[127:128], v[81:82] offset0:2 offset1:3
	ds_write2_b64 v50, v[79:80], v[77:78] offset0:4 offset1:5
	;; [unrolled: 1-line block ×7, first 2 shown]
	ds_write_b64 v50, v[44:45] offset:128
.LBB0_13:
	s_or_b64 exec, exec, s[2:3]
	s_waitcnt lgkmcnt(0)
	s_barrier
	ds_read2_b64 v[4:7], v83 offset1:170
	v_add_u32_e32 v2, 0x800, v83
	ds_read2_b64 v[8:11], v2 offset0:84 offset1:254
	v_add_u32_e32 v1, 0x1400, v83
	ds_read2_b64 v[44:47], v1 offset0:40 offset1:210
	;; [unrolled: 2-line block ×3, first 2 shown]
	s_waitcnt lgkmcnt(3)
	v_mul_f32_e32 v56, v25, v7
	v_add_u32_e32 v0, 0x2800, v83
	v_fmac_f32_e32 v56, v24, v6
	v_mul_f32_e32 v6, v25, v6
	ds_read2_b64 v[52:55], v0 offset0:80 offset1:250
	v_fma_f32 v24, v24, v7, -v6
	s_waitcnt lgkmcnt(3)
	v_mul_f32_e32 v6, v27, v9
	v_mul_f32_e32 v7, v27, v8
	v_fmac_f32_e32 v6, v26, v8
	v_fma_f32 v7, v26, v9, -v7
	v_mul_f32_e32 v8, v21, v11
	v_mul_f32_e32 v9, v21, v10
	v_fmac_f32_e32 v8, v20, v10
	v_fma_f32 v9, v20, v11, -v9
	s_waitcnt lgkmcnt(2)
	v_mul_f32_e32 v20, v17, v47
	v_mul_f32_e32 v17, v17, v46
	;; [unrolled: 1-line block ×3, first 2 shown]
	v_fmac_f32_e32 v20, v16, v46
	v_fma_f32 v16, v16, v47, -v17
	s_waitcnt lgkmcnt(1)
	v_mul_f32_e32 v17, v19, v49
	v_mul_f32_e32 v19, v19, v48
	v_fmac_f32_e32 v10, v22, v44
	v_fmac_f32_e32 v17, v18, v48
	v_fma_f32 v18, v18, v49, -v19
	v_mul_f32_e32 v19, v13, v51
	v_mul_f32_e32 v13, v13, v50
	;; [unrolled: 1-line block ×3, first 2 shown]
	v_fmac_f32_e32 v19, v12, v50
	v_fma_f32 v12, v12, v51, -v13
	s_waitcnt lgkmcnt(0)
	v_mul_f32_e32 v13, v15, v53
	v_mul_f32_e32 v15, v15, v52
	v_add_f32_e32 v23, v10, v17
	v_fmac_f32_e32 v13, v14, v52
	v_fma_f32 v14, v14, v53, -v15
	v_fma_f32 v23, -0.5, v23, v4
	v_fma_f32 v11, v22, v45, -v11
	v_sub_f32_e32 v25, v7, v14
	v_mov_b32_e32 v26, v23
	v_fmac_f32_e32 v26, 0xbf737871, v25
	v_sub_f32_e32 v27, v11, v18
	v_sub_f32_e32 v44, v6, v10
	;; [unrolled: 1-line block ×3, first 2 shown]
	v_fmac_f32_e32 v23, 0x3f737871, v25
	v_fmac_f32_e32 v26, 0xbf167918, v27
	v_add_f32_e32 v44, v44, v45
	v_fmac_f32_e32 v23, 0x3f167918, v27
	v_fmac_f32_e32 v26, 0x3e9e377a, v44
	;; [unrolled: 1-line block ×3, first 2 shown]
	v_add_f32_e32 v44, v6, v13
	v_fma_f32 v44, -0.5, v44, v4
	v_mov_b32_e32 v45, v44
	v_add_f32_e32 v22, v4, v6
	v_fmac_f32_e32 v45, 0x3f737871, v27
	v_sub_f32_e32 v4, v10, v6
	v_sub_f32_e32 v46, v17, v13
	v_fmac_f32_e32 v44, 0xbf737871, v27
	v_fmac_f32_e32 v45, 0xbf167918, v25
	v_add_f32_e32 v4, v4, v46
	v_fmac_f32_e32 v44, 0x3f167918, v25
	v_fmac_f32_e32 v45, 0x3e9e377a, v4
	;; [unrolled: 1-line block ×3, first 2 shown]
	v_add_f32_e32 v4, v5, v7
	v_add_f32_e32 v4, v4, v11
	;; [unrolled: 1-line block ×6, first 2 shown]
	v_fma_f32 v27, -0.5, v4, v5
	v_add_f32_e32 v22, v22, v17
	v_sub_f32_e32 v4, v6, v13
	v_mov_b32_e32 v46, v27
	v_add_f32_e32 v22, v22, v13
	v_fmac_f32_e32 v46, 0x3f737871, v4
	v_sub_f32_e32 v6, v10, v17
	v_sub_f32_e32 v10, v7, v11
	;; [unrolled: 1-line block ×3, first 2 shown]
	v_fmac_f32_e32 v27, 0xbf737871, v4
	v_fmac_f32_e32 v46, 0x3f167918, v6
	v_add_f32_e32 v10, v10, v13
	v_fmac_f32_e32 v27, 0xbf167918, v6
	v_fmac_f32_e32 v46, 0x3e9e377a, v10
	v_fmac_f32_e32 v27, 0x3e9e377a, v10
	v_add_f32_e32 v10, v7, v14
	v_fma_f32 v47, -0.5, v10, v5
	v_mov_b32_e32 v48, v47
	v_fmac_f32_e32 v48, 0xbf737871, v6
	v_fmac_f32_e32 v47, 0x3f737871, v6
	;; [unrolled: 1-line block ×4, first 2 shown]
	v_add_f32_e32 v4, v56, v8
	v_mul_f32_e32 v15, v68, v55
	v_add_f32_e32 v4, v4, v20
	v_fmac_f32_e32 v15, v67, v54
	v_add_f32_e32 v4, v4, v19
	v_mul_f32_e32 v21, v68, v54
	v_sub_f32_e32 v5, v11, v7
	v_sub_f32_e32 v7, v18, v14
	v_add_f32_e32 v14, v4, v15
	v_add_f32_e32 v4, v20, v19
	v_fma_f32 v21, v67, v55, -v21
	v_fma_f32 v13, -0.5, v4, v56
	v_add_f32_e32 v5, v5, v7
	v_sub_f32_e32 v4, v9, v21
	v_mov_b32_e32 v7, v13
	v_fmac_f32_e32 v48, 0x3e9e377a, v5
	v_fmac_f32_e32 v47, 0x3e9e377a, v5
	;; [unrolled: 1-line block ×3, first 2 shown]
	v_sub_f32_e32 v5, v16, v12
	v_sub_f32_e32 v6, v8, v20
	;; [unrolled: 1-line block ×3, first 2 shown]
	v_fmac_f32_e32 v13, 0x3f737871, v4
	v_fmac_f32_e32 v7, 0xbf167918, v5
	v_add_f32_e32 v6, v6, v10
	v_fmac_f32_e32 v13, 0x3f167918, v5
	v_fmac_f32_e32 v7, 0x3e9e377a, v6
	;; [unrolled: 1-line block ×3, first 2 shown]
	v_add_f32_e32 v6, v8, v15
	v_fmac_f32_e32 v56, -0.5, v6
	v_mov_b32_e32 v11, v56
	v_fmac_f32_e32 v11, 0x3f737871, v5
	v_fmac_f32_e32 v56, 0xbf737871, v5
	;; [unrolled: 1-line block ×4, first 2 shown]
	v_add_f32_e32 v4, v24, v9
	v_add_f32_e32 v4, v4, v16
	;; [unrolled: 1-line block ×5, first 2 shown]
	v_sub_f32_e32 v6, v20, v8
	v_sub_f32_e32 v10, v19, v15
	v_fma_f32 v18, -0.5, v4, v24
	v_add_f32_e32 v6, v6, v10
	v_sub_f32_e32 v4, v8, v15
	v_mov_b32_e32 v15, v18
	v_fmac_f32_e32 v11, 0x3e9e377a, v6
	v_fmac_f32_e32 v56, 0x3e9e377a, v6
	;; [unrolled: 1-line block ×3, first 2 shown]
	v_sub_f32_e32 v5, v20, v19
	v_sub_f32_e32 v6, v9, v16
	;; [unrolled: 1-line block ×3, first 2 shown]
	v_fmac_f32_e32 v18, 0xbf737871, v4
	v_fmac_f32_e32 v15, 0x3f167918, v5
	v_add_f32_e32 v6, v6, v8
	v_fmac_f32_e32 v18, 0xbf167918, v5
	v_fmac_f32_e32 v15, 0x3e9e377a, v6
	;; [unrolled: 1-line block ×3, first 2 shown]
	v_add_f32_e32 v6, v9, v21
	v_fmac_f32_e32 v24, -0.5, v6
	v_mov_b32_e32 v19, v24
	v_fmac_f32_e32 v19, 0xbf737871, v5
	v_sub_f32_e32 v6, v16, v9
	v_sub_f32_e32 v8, v12, v21
	v_fmac_f32_e32 v24, 0x3f737871, v5
	v_fmac_f32_e32 v19, 0x3f167918, v4
	v_add_f32_e32 v6, v6, v8
	v_fmac_f32_e32 v24, 0xbf167918, v4
	v_fmac_f32_e32 v19, 0x3e9e377a, v6
	;; [unrolled: 1-line block ×3, first 2 shown]
	v_mul_f32_e32 v16, 0xbf167918, v15
	v_mul_f32_e32 v20, 0xbf737871, v19
	;; [unrolled: 1-line block ×8, first 2 shown]
	v_fmac_f32_e32 v16, 0x3f4f1bbd, v7
	v_fmac_f32_e32 v20, 0x3e9e377a, v11
	;; [unrolled: 1-line block ×8, first 2 shown]
	v_add_f32_e32 v4, v22, v14
	v_add_f32_e32 v6, v26, v16
	;; [unrolled: 1-line block ×10, first 2 shown]
	v_sub_f32_e32 v14, v22, v14
	v_sub_f32_e32 v16, v26, v16
	;; [unrolled: 1-line block ×10, first 2 shown]
	s_barrier
	ds_write2_b64 v86, v[4:5], v[6:7] offset1:17
	ds_write2_b64 v86, v[8:9], v[10:11] offset0:34 offset1:51
	ds_write2_b64 v86, v[12:13], v[14:15] offset0:68 offset1:85
	ds_write2_b64 v86, v[16:17], v[18:19] offset0:102 offset1:119
	ds_write2_b64 v86, v[20:21], v[22:23] offset0:136 offset1:153
	s_waitcnt lgkmcnt(0)
	s_barrier
	ds_read2_b64 v[4:7], v83 offset1:170
	ds_read2_b64 v[8:11], v2 offset0:84 offset1:254
	ds_read2_b64 v[12:15], v1 offset0:40 offset1:210
	;; [unrolled: 1-line block ×4, first 2 shown]
	s_waitcnt lgkmcnt(4)
	v_mul_f32_e32 v24, v41, v7
	v_fmac_f32_e32 v24, v40, v6
	v_mul_f32_e32 v6, v41, v6
	v_fma_f32 v25, v40, v7, -v6
	s_waitcnt lgkmcnt(3)
	v_mul_f32_e32 v7, v43, v8
	v_mul_f32_e32 v6, v43, v9
	v_fma_f32 v7, v42, v9, -v7
	v_mul_f32_e32 v9, v37, v10
	v_fmac_f32_e32 v6, v42, v8
	v_mul_f32_e32 v8, v37, v11
	v_fma_f32 v9, v36, v11, -v9
	s_waitcnt lgkmcnt(2)
	v_mul_f32_e32 v11, v39, v12
	v_fmac_f32_e32 v8, v36, v10
	v_mul_f32_e32 v10, v39, v13
	v_fma_f32 v11, v38, v13, -v11
	v_mul_f32_e32 v13, v33, v14
	v_fmac_f32_e32 v10, v38, v12
	v_mul_f32_e32 v12, v33, v15
	v_fma_f32 v13, v32, v15, -v13
	s_waitcnt lgkmcnt(1)
	v_mul_f32_e32 v15, v35, v16
	v_fmac_f32_e32 v12, v32, v14
	;; [unrolled: 9-line block ×3, first 2 shown]
	v_mul_f32_e32 v18, v31, v21
	v_fma_f32 v19, v30, v21, -v19
	v_mul_f32_e32 v21, v70, v22
	v_fmac_f32_e32 v18, v30, v20
	v_mul_f32_e32 v20, v70, v23
	v_fma_f32 v21, v69, v23, -v21
	v_add_f32_e32 v23, v10, v14
	v_fma_f32 v23, -0.5, v23, v4
	v_sub_f32_e32 v26, v7, v19
	v_mov_b32_e32 v27, v23
	v_fmac_f32_e32 v27, 0xbf737871, v26
	v_sub_f32_e32 v28, v11, v15
	v_sub_f32_e32 v29, v6, v10
	;; [unrolled: 1-line block ×3, first 2 shown]
	v_fmac_f32_e32 v23, 0x3f737871, v26
	v_fmac_f32_e32 v27, 0xbf167918, v28
	v_add_f32_e32 v29, v29, v30
	v_fmac_f32_e32 v23, 0x3f167918, v28
	v_fmac_f32_e32 v27, 0x3e9e377a, v29
	;; [unrolled: 1-line block ×3, first 2 shown]
	v_add_f32_e32 v29, v6, v18
	v_fma_f32 v29, -0.5, v29, v4
	v_mov_b32_e32 v30, v29
	v_fmac_f32_e32 v20, v69, v22
	v_add_f32_e32 v22, v4, v6
	v_fmac_f32_e32 v30, 0x3f737871, v28
	v_sub_f32_e32 v4, v10, v6
	v_sub_f32_e32 v31, v14, v18
	v_fmac_f32_e32 v29, 0xbf737871, v28
	v_fmac_f32_e32 v30, 0xbf167918, v26
	v_add_f32_e32 v4, v4, v31
	v_fmac_f32_e32 v29, 0x3f167918, v26
	v_fmac_f32_e32 v30, 0x3e9e377a, v4
	;; [unrolled: 1-line block ×3, first 2 shown]
	v_add_f32_e32 v4, v5, v7
	v_add_f32_e32 v4, v4, v11
	v_add_f32_e32 v4, v4, v15
	v_add_f32_e32 v26, v4, v19
	v_add_f32_e32 v4, v11, v15
	v_fma_f32 v28, -0.5, v4, v5
	v_add_f32_e32 v22, v22, v10
	v_sub_f32_e32 v4, v6, v18
	v_mov_b32_e32 v31, v28
	v_add_f32_e32 v22, v22, v14
	v_fmac_f32_e32 v31, 0x3f737871, v4
	v_sub_f32_e32 v6, v10, v14
	v_sub_f32_e32 v10, v7, v11
	;; [unrolled: 1-line block ×3, first 2 shown]
	v_fmac_f32_e32 v28, 0xbf737871, v4
	v_fmac_f32_e32 v31, 0x3f167918, v6
	v_add_f32_e32 v10, v10, v14
	v_fmac_f32_e32 v28, 0xbf167918, v6
	v_fmac_f32_e32 v31, 0x3e9e377a, v10
	;; [unrolled: 1-line block ×3, first 2 shown]
	v_add_f32_e32 v10, v7, v19
	v_fma_f32 v32, -0.5, v10, v5
	v_mov_b32_e32 v33, v32
	v_fmac_f32_e32 v33, 0xbf737871, v6
	v_fmac_f32_e32 v32, 0x3f737871, v6
	;; [unrolled: 1-line block ×4, first 2 shown]
	v_add_f32_e32 v4, v24, v8
	v_add_f32_e32 v4, v4, v12
	;; [unrolled: 1-line block ×5, first 2 shown]
	v_sub_f32_e32 v5, v11, v7
	v_sub_f32_e32 v7, v15, v19
	v_fma_f32 v15, -0.5, v4, v24
	v_add_f32_e32 v5, v5, v7
	v_sub_f32_e32 v4, v9, v21
	v_mov_b32_e32 v7, v15
	v_fmac_f32_e32 v33, 0x3e9e377a, v5
	v_fmac_f32_e32 v32, 0x3e9e377a, v5
	;; [unrolled: 1-line block ×3, first 2 shown]
	v_sub_f32_e32 v5, v13, v17
	v_sub_f32_e32 v6, v8, v12
	;; [unrolled: 1-line block ×3, first 2 shown]
	v_fmac_f32_e32 v15, 0x3f737871, v4
	v_fmac_f32_e32 v7, 0xbf167918, v5
	v_add_f32_e32 v6, v6, v10
	v_fmac_f32_e32 v15, 0x3f167918, v5
	v_fmac_f32_e32 v7, 0x3e9e377a, v6
	;; [unrolled: 1-line block ×3, first 2 shown]
	v_add_f32_e32 v6, v8, v20
	v_fmac_f32_e32 v24, -0.5, v6
	v_mov_b32_e32 v11, v24
	v_fmac_f32_e32 v11, 0x3f737871, v5
	v_fmac_f32_e32 v24, 0xbf737871, v5
	;; [unrolled: 1-line block ×4, first 2 shown]
	v_add_f32_e32 v4, v25, v9
	v_add_f32_e32 v4, v4, v13
	;; [unrolled: 1-line block ×6, first 2 shown]
	v_sub_f32_e32 v6, v12, v8
	v_sub_f32_e32 v10, v16, v20
	v_fma_f32 v18, -0.5, v4, v25
	v_add_f32_e32 v6, v6, v10
	v_sub_f32_e32 v4, v8, v20
	v_mov_b32_e32 v20, v18
	v_fmac_f32_e32 v11, 0x3e9e377a, v6
	v_fmac_f32_e32 v24, 0x3e9e377a, v6
	v_fmac_f32_e32 v20, 0x3f737871, v4
	v_sub_f32_e32 v5, v12, v16
	v_sub_f32_e32 v6, v9, v13
	;; [unrolled: 1-line block ×3, first 2 shown]
	v_fmac_f32_e32 v18, 0xbf737871, v4
	v_fmac_f32_e32 v20, 0x3f167918, v5
	v_add_f32_e32 v6, v6, v8
	v_fmac_f32_e32 v18, 0xbf167918, v5
	v_fmac_f32_e32 v20, 0x3e9e377a, v6
	v_fmac_f32_e32 v18, 0x3e9e377a, v6
	v_add_f32_e32 v6, v9, v21
	v_fmac_f32_e32 v25, -0.5, v6
	v_mov_b32_e32 v16, v25
	v_sub_f32_e32 v6, v13, v9
	v_sub_f32_e32 v8, v17, v21
	v_fmac_f32_e32 v25, 0x3f737871, v5
	v_fmac_f32_e32 v16, 0xbf737871, v5
	v_add_f32_e32 v6, v6, v8
	v_fmac_f32_e32 v25, 0xbf167918, v4
	v_fmac_f32_e32 v16, 0x3f167918, v4
	;; [unrolled: 1-line block ×4, first 2 shown]
	v_mul_f32_e32 v17, 0xbf167918, v20
	v_mul_f32_e32 v34, 0xbf737871, v25
	;; [unrolled: 1-line block ×4, first 2 shown]
	v_fmac_f32_e32 v17, 0x3f4f1bbd, v7
	v_mul_f32_e32 v21, 0xbf737871, v16
	v_fmac_f32_e32 v34, 0xbe9e377a, v24
	v_mul_f32_e32 v35, 0xbf167918, v18
	;; [unrolled: 2-line block ×4, first 2 shown]
	v_add_f32_e32 v4, v22, v14
	v_add_f32_e32 v6, v27, v17
	v_fmac_f32_e32 v21, 0x3e9e377a, v11
	v_fmac_f32_e32 v35, 0xbf4f1bbd, v15
	v_add_f32_e32 v5, v26, v19
	v_add_f32_e32 v7, v31, v36
	v_fmac_f32_e32 v37, 0x3f737871, v11
	v_fmac_f32_e32 v24, 0x3f167918, v15
	v_add_f32_e32 v8, v30, v21
	v_add_f32_e32 v10, v29, v34
	;; [unrolled: 1-line block ×6, first 2 shown]
	v_sub_f32_e32 v14, v22, v14
	v_sub_f32_e32 v16, v27, v17
	;; [unrolled: 1-line block ×10, first 2 shown]
	ds_write2_b64 v83, v[4:5], v[6:7] offset1:170
	ds_write2_b64 v2, v[8:9], v[10:11] offset0:84 offset1:254
	ds_write2_b64 v1, v[12:13], v[14:15] offset0:40 offset1:210
	;; [unrolled: 1-line block ×4, first 2 shown]
	s_waitcnt lgkmcnt(0)
	s_barrier
	s_and_b64 exec, exec, s[0:1]
	s_cbranch_execz .LBB0_15
; %bb.14:
	global_load_dwordx2 v[3:4], v83, s[8:9]
	ds_read_b64 v[5:6], v83
	v_mad_u64_u32 v[7:8], s[0:1], s6, v233, 0
	v_mad_u64_u32 v[9:10], s[0:1], s4, v234, 0
	s_mov_b32 s0, 0xace01346
	s_mov_b32 s1, 0x3f434679
	v_mad_u64_u32 v[11:12], s[2:3], s7, v233, v[8:9]
	v_mov_b32_e32 v14, s11
	v_mad_u64_u32 v[12:13], s[2:3], s5, v234, v[10:11]
	s_mul_i32 s3, s5, 0x320
	s_mul_hi_u32 s5, s4, 0x320
	v_mov_b32_e32 v10, v12
	v_lshlrev_b64 v[9:10], 3, v[9:10]
	s_mul_i32 s2, s4, 0x320
	s_add_i32 s3, s5, s3
	s_movk_i32 s4, 0x1000
	s_waitcnt vmcnt(0) lgkmcnt(0)
	v_mul_f32_e32 v8, v6, v4
	v_mul_f32_e32 v4, v5, v4
	v_fmac_f32_e32 v8, v5, v3
	v_fma_f32 v5, v3, v6, -v4
	v_cvt_f64_f32_e32 v[3:4], v8
	v_cvt_f64_f32_e32 v[5:6], v5
	v_mov_b32_e32 v8, v11
	v_lshlrev_b64 v[7:8], 3, v[7:8]
	v_mul_f64 v[3:4], v[3:4], s[0:1]
	v_mul_f64 v[5:6], v[5:6], s[0:1]
	v_add_co_u32_e32 v7, vcc, s10, v7
	v_addc_co_u32_e32 v8, vcc, v14, v8, vcc
	v_add_co_u32_e32 v7, vcc, v7, v9
	v_cvt_f32_f64_e32 v3, v[3:4]
	v_cvt_f32_f64_e32 v4, v[5:6]
	v_addc_co_u32_e32 v8, vcc, v8, v10, vcc
	v_mov_b32_e32 v14, s3
	global_store_dwordx2 v[7:8], v[3:4], off
	global_load_dwordx2 v[9:10], v83, s[8:9] offset:800
	ds_read2_b64 v[3:6], v83 offset0:100 offset1:200
	v_add_co_u32_e32 v7, vcc, s2, v7
	s_waitcnt vmcnt(0) lgkmcnt(0)
	v_mul_f32_e32 v11, v4, v10
	v_mul_f32_e32 v10, v3, v10
	v_fmac_f32_e32 v11, v3, v9
	v_fma_f32 v9, v9, v4, -v10
	v_cvt_f64_f32_e32 v[3:4], v11
	v_cvt_f64_f32_e32 v[9:10], v9
	v_mov_b32_e32 v11, s3
	v_addc_co_u32_e32 v8, vcc, v8, v11, vcc
	v_mul_f64 v[3:4], v[3:4], s[0:1]
	v_mul_f64 v[9:10], v[9:10], s[0:1]
	v_cvt_f32_f64_e32 v3, v[3:4]
	v_cvt_f32_f64_e32 v4, v[9:10]
	global_store_dwordx2 v[7:8], v[3:4], off
	global_load_dwordx2 v[3:4], v83, s[8:9] offset:1600
	s_waitcnt vmcnt(0)
	v_mul_f32_e32 v9, v6, v4
	v_mul_f32_e32 v4, v5, v4
	v_fmac_f32_e32 v9, v5, v3
	v_fma_f32 v5, v3, v6, -v4
	v_cvt_f64_f32_e32 v[3:4], v9
	v_cvt_f64_f32_e32 v[5:6], v5
	v_mov_b32_e32 v9, s3
	v_mul_f64 v[3:4], v[3:4], s[0:1]
	v_mul_f64 v[5:6], v[5:6], s[0:1]
	v_cvt_f32_f64_e32 v3, v[3:4]
	v_cvt_f32_f64_e32 v4, v[5:6]
	v_add_co_u32_e32 v6, vcc, s2, v7
	v_addc_co_u32_e32 v7, vcc, v8, v9, vcc
	global_store_dwordx2 v[6:7], v[3:4], off
	global_load_dwordx2 v[8:9], v83, s[8:9] offset:2400
	ds_read2_b64 v[2:5], v2 offset0:44 offset1:144
	v_add_co_u32_e32 v6, vcc, s2, v6
	s_waitcnt vmcnt(0) lgkmcnt(0)
	v_mul_f32_e32 v10, v3, v9
	v_mul_f32_e32 v9, v2, v9
	v_fmac_f32_e32 v10, v2, v8
	v_fma_f32 v8, v8, v3, -v9
	v_cvt_f64_f32_e32 v[2:3], v10
	v_cvt_f64_f32_e32 v[8:9], v8
	v_mov_b32_e32 v10, s3
	v_addc_co_u32_e32 v7, vcc, v7, v10, vcc
	v_mul_f64 v[2:3], v[2:3], s[0:1]
	v_mul_f64 v[8:9], v[8:9], s[0:1]
	v_cvt_f32_f64_e32 v2, v[2:3]
	v_cvt_f32_f64_e32 v3, v[8:9]
	global_store_dwordx2 v[6:7], v[2:3], off
	global_load_dwordx2 v[2:3], v83, s[8:9] offset:3200
	v_add_co_u32_e32 v6, vcc, s2, v6
	s_waitcnt vmcnt(0)
	v_mul_f32_e32 v8, v5, v3
	v_mul_f32_e32 v3, v4, v3
	v_fmac_f32_e32 v8, v4, v2
	v_fma_f32 v4, v2, v5, -v3
	v_cvt_f64_f32_e32 v[2:3], v8
	v_cvt_f64_f32_e32 v[4:5], v4
	v_mov_b32_e32 v8, s3
	v_addc_co_u32_e32 v7, vcc, v7, v8, vcc
	v_mul_f64 v[2:3], v[2:3], s[0:1]
	v_mul_f64 v[4:5], v[4:5], s[0:1]
	v_add_co_u32_e32 v12, vcc, s8, v83
	v_cvt_f32_f64_e32 v2, v[2:3]
	v_cvt_f32_f64_e32 v3, v[4:5]
	global_store_dwordx2 v[6:7], v[2:3], off
	global_load_dwordx2 v[8:9], v83, s[8:9] offset:4000
	v_add_u32_e32 v2, 0xc00, v83
	ds_read2_b64 v[2:5], v2 offset0:116 offset1:216
	s_waitcnt vmcnt(0) lgkmcnt(0)
	v_mul_f32_e32 v10, v3, v9
	v_mul_f32_e32 v9, v2, v9
	v_fmac_f32_e32 v10, v2, v8
	v_fma_f32 v8, v8, v3, -v9
	v_cvt_f64_f32_e32 v[2:3], v10
	v_cvt_f64_f32_e32 v[8:9], v8
	v_mov_b32_e32 v10, s9
	v_addc_co_u32_e32 v13, vcc, 0, v10, vcc
	v_mul_f64 v[2:3], v[2:3], s[0:1]
	v_mul_f64 v[8:9], v[8:9], s[0:1]
	v_add_co_u32_e32 v10, vcc, s4, v12
	v_addc_co_u32_e32 v11, vcc, 0, v13, vcc
	v_add_co_u32_e32 v6, vcc, s2, v6
	v_cvt_f32_f64_e32 v2, v[2:3]
	v_cvt_f32_f64_e32 v3, v[8:9]
	v_addc_co_u32_e32 v7, vcc, v7, v14, vcc
	s_movk_i32 s4, 0x2000
	global_store_dwordx2 v[6:7], v[2:3], off
	global_load_dwordx2 v[2:3], v[10:11], off offset:704
	s_waitcnt vmcnt(0)
	v_mul_f32_e32 v8, v5, v3
	v_mul_f32_e32 v3, v4, v3
	v_fmac_f32_e32 v8, v4, v2
	v_fma_f32 v4, v2, v5, -v3
	v_cvt_f64_f32_e32 v[2:3], v8
	v_cvt_f64_f32_e32 v[4:5], v4
	v_mov_b32_e32 v8, s3
	v_mul_f64 v[2:3], v[2:3], s[0:1]
	v_mul_f64 v[4:5], v[4:5], s[0:1]
	v_cvt_f32_f64_e32 v2, v[2:3]
	v_cvt_f32_f64_e32 v3, v[4:5]
	v_add_co_u32_e32 v5, vcc, s2, v6
	v_addc_co_u32_e32 v6, vcc, v7, v8, vcc
	global_store_dwordx2 v[5:6], v[2:3], off
	global_load_dwordx2 v[7:8], v[10:11], off offset:1504
	ds_read2_b64 v[1:4], v1 offset0:60 offset1:160
	v_add_co_u32_e32 v5, vcc, s2, v5
	s_waitcnt vmcnt(0) lgkmcnt(0)
	v_mul_f32_e32 v9, v2, v8
	v_mul_f32_e32 v8, v1, v8
	v_fmac_f32_e32 v9, v1, v7
	v_fma_f32 v7, v7, v2, -v8
	v_cvt_f64_f32_e32 v[1:2], v9
	v_cvt_f64_f32_e32 v[7:8], v7
	v_mov_b32_e32 v9, s3
	v_addc_co_u32_e32 v6, vcc, v6, v9, vcc
	v_mul_f64 v[1:2], v[1:2], s[0:1]
	v_mul_f64 v[7:8], v[7:8], s[0:1]
	v_cvt_f32_f64_e32 v1, v[1:2]
	v_cvt_f32_f64_e32 v2, v[7:8]
	global_store_dwordx2 v[5:6], v[1:2], off
	global_load_dwordx2 v[1:2], v[10:11], off offset:2304
	v_add_co_u32_e32 v5, vcc, s2, v5
	s_waitcnt vmcnt(0)
	v_mul_f32_e32 v7, v4, v2
	v_mul_f32_e32 v2, v3, v2
	v_fmac_f32_e32 v7, v3, v1
	v_fma_f32 v3, v1, v4, -v2
	v_cvt_f64_f32_e32 v[1:2], v7
	v_cvt_f64_f32_e32 v[3:4], v3
	v_mov_b32_e32 v7, s3
	v_addc_co_u32_e32 v6, vcc, v6, v7, vcc
	v_mul_f64 v[1:2], v[1:2], s[0:1]
	v_mul_f64 v[3:4], v[3:4], s[0:1]
	v_cvt_f32_f64_e32 v1, v[1:2]
	v_cvt_f32_f64_e32 v2, v[3:4]
	global_store_dwordx2 v[5:6], v[1:2], off
	global_load_dwordx2 v[7:8], v[10:11], off offset:3104
	v_add_u32_e32 v1, 0x1800, v83
	ds_read2_b64 v[1:4], v1 offset0:132 offset1:232
	v_add_co_u32_e32 v5, vcc, s2, v5
	s_waitcnt vmcnt(0) lgkmcnt(0)
	v_mul_f32_e32 v9, v2, v8
	v_mul_f32_e32 v8, v1, v8
	v_fmac_f32_e32 v9, v1, v7
	v_fma_f32 v7, v7, v2, -v8
	v_cvt_f64_f32_e32 v[1:2], v9
	v_cvt_f64_f32_e32 v[7:8], v7
	v_mov_b32_e32 v9, s3
	v_addc_co_u32_e32 v6, vcc, v6, v9, vcc
	v_mul_f64 v[1:2], v[1:2], s[0:1]
	v_mul_f64 v[7:8], v[7:8], s[0:1]
	v_cvt_f32_f64_e32 v1, v[1:2]
	v_cvt_f32_f64_e32 v2, v[7:8]
	global_store_dwordx2 v[5:6], v[1:2], off
	global_load_dwordx2 v[1:2], v[10:11], off offset:3904
	s_waitcnt vmcnt(0)
	v_mul_f32_e32 v7, v4, v2
	v_mul_f32_e32 v2, v3, v2
	v_fmac_f32_e32 v7, v3, v1
	v_fma_f32 v3, v1, v4, -v2
	v_cvt_f64_f32_e32 v[1:2], v7
	v_cvt_f64_f32_e32 v[3:4], v3
	v_add_co_u32_e32 v7, vcc, s4, v12
	v_mul_f64 v[1:2], v[1:2], s[0:1]
	v_mul_f64 v[3:4], v[3:4], s[0:1]
	v_addc_co_u32_e32 v8, vcc, 0, v13, vcc
	v_add_co_u32_e32 v5, vcc, s2, v5
	v_addc_co_u32_e32 v6, vcc, v6, v9, vcc
	v_cvt_f32_f64_e32 v1, v[1:2]
	v_cvt_f32_f64_e32 v2, v[3:4]
	s_movk_i32 s4, 0x3000
	global_store_dwordx2 v[5:6], v[1:2], off
	global_load_dwordx2 v[9:10], v[7:8], off offset:608
	v_add_u32_e32 v1, 0x2000, v83
	ds_read2_b64 v[1:4], v1 offset0:76 offset1:176
	v_add_co_u32_e32 v5, vcc, s2, v5
	s_waitcnt vmcnt(0) lgkmcnt(0)
	v_mul_f32_e32 v11, v2, v10
	v_mul_f32_e32 v10, v1, v10
	v_fmac_f32_e32 v11, v1, v9
	v_fma_f32 v9, v9, v2, -v10
	v_cvt_f64_f32_e32 v[1:2], v11
	v_cvt_f64_f32_e32 v[9:10], v9
	v_mov_b32_e32 v11, s3
	v_addc_co_u32_e32 v6, vcc, v6, v11, vcc
	v_mul_f64 v[1:2], v[1:2], s[0:1]
	v_mul_f64 v[9:10], v[9:10], s[0:1]
	v_cvt_f32_f64_e32 v1, v[1:2]
	v_cvt_f32_f64_e32 v2, v[9:10]
	global_store_dwordx2 v[5:6], v[1:2], off
	global_load_dwordx2 v[1:2], v[7:8], off offset:1408
	s_waitcnt vmcnt(0)
	v_mul_f32_e32 v9, v4, v2
	v_mul_f32_e32 v2, v3, v2
	v_fmac_f32_e32 v9, v3, v1
	v_fma_f32 v3, v1, v4, -v2
	v_cvt_f64_f32_e32 v[1:2], v9
	v_cvt_f64_f32_e32 v[3:4], v3
	v_mov_b32_e32 v9, s3
	v_mul_f64 v[1:2], v[1:2], s[0:1]
	v_mul_f64 v[3:4], v[3:4], s[0:1]
	v_cvt_f32_f64_e32 v1, v[1:2]
	v_cvt_f32_f64_e32 v2, v[3:4]
	v_add_co_u32_e32 v4, vcc, s2, v5
	v_addc_co_u32_e32 v5, vcc, v6, v9, vcc
	global_store_dwordx2 v[4:5], v[1:2], off
	global_load_dwordx2 v[9:10], v[7:8], off offset:2208
	ds_read2_b64 v[0:3], v0 offset0:20 offset1:120
	v_add_co_u32_e32 v4, vcc, s2, v4
	s_waitcnt vmcnt(0) lgkmcnt(0)
	v_mul_f32_e32 v6, v1, v10
	v_mul_f32_e32 v10, v0, v10
	v_fmac_f32_e32 v6, v0, v9
	v_fma_f32 v9, v9, v1, -v10
	v_cvt_f64_f32_e32 v[0:1], v6
	v_cvt_f64_f32_e32 v[9:10], v9
	v_mov_b32_e32 v6, s3
	v_addc_co_u32_e32 v5, vcc, v5, v6, vcc
	v_mul_f64 v[0:1], v[0:1], s[0:1]
	v_mul_f64 v[9:10], v[9:10], s[0:1]
	v_cvt_f32_f64_e32 v0, v[0:1]
	v_cvt_f32_f64_e32 v1, v[9:10]
	v_mov_b32_e32 v10, s3
	global_store_dwordx2 v[4:5], v[0:1], off
	global_load_dwordx2 v[0:1], v[7:8], off offset:3008
	v_add_co_u32_e32 v4, vcc, s2, v4
	s_waitcnt vmcnt(0)
	v_mul_f32_e32 v6, v3, v1
	v_mul_f32_e32 v1, v2, v1
	v_fmac_f32_e32 v6, v2, v0
	v_fma_f32 v2, v0, v3, -v1
	v_cvt_f64_f32_e32 v[0:1], v6
	v_cvt_f64_f32_e32 v[2:3], v2
	v_mov_b32_e32 v6, s3
	v_addc_co_u32_e32 v5, vcc, v5, v6, vcc
	v_mul_f64 v[0:1], v[0:1], s[0:1]
	v_mul_f64 v[2:3], v[2:3], s[0:1]
	v_cvt_f32_f64_e32 v0, v[0:1]
	v_cvt_f32_f64_e32 v1, v[2:3]
	global_store_dwordx2 v[4:5], v[0:1], off
	global_load_dwordx2 v[6:7], v[7:8], off offset:3808
	v_add_u32_e32 v0, 0x2c00, v83
	ds_read2_b64 v[0:3], v0 offset0:92 offset1:192
	s_waitcnt vmcnt(0) lgkmcnt(0)
	v_mul_f32_e32 v8, v1, v7
	v_mul_f32_e32 v7, v0, v7
	v_fmac_f32_e32 v8, v0, v6
	v_fma_f32 v6, v6, v1, -v7
	v_cvt_f64_f32_e32 v[0:1], v8
	v_cvt_f64_f32_e32 v[6:7], v6
	v_add_co_u32_e32 v8, vcc, s4, v12
	v_mul_f64 v[0:1], v[0:1], s[0:1]
	v_mul_f64 v[6:7], v[6:7], s[0:1]
	v_addc_co_u32_e32 v9, vcc, 0, v13, vcc
	v_add_co_u32_e32 v4, vcc, s2, v4
	v_addc_co_u32_e32 v5, vcc, v5, v10, vcc
	v_cvt_f32_f64_e32 v0, v[0:1]
	v_cvt_f32_f64_e32 v1, v[6:7]
	global_store_dwordx2 v[4:5], v[0:1], off
	global_load_dwordx2 v[0:1], v[8:9], off offset:512
	s_waitcnt vmcnt(0)
	v_mul_f32_e32 v6, v3, v1
	v_mul_f32_e32 v1, v2, v1
	v_fmac_f32_e32 v6, v2, v0
	v_fma_f32 v2, v0, v3, -v1
	v_cvt_f64_f32_e32 v[0:1], v6
	v_cvt_f64_f32_e32 v[2:3], v2
	v_mov_b32_e32 v6, s3
	v_mul_f64 v[0:1], v[0:1], s[0:1]
	v_mul_f64 v[2:3], v[2:3], s[0:1]
	v_cvt_f32_f64_e32 v0, v[0:1]
	v_cvt_f32_f64_e32 v1, v[2:3]
	v_add_co_u32_e32 v2, vcc, s2, v4
	v_addc_co_u32_e32 v3, vcc, v5, v6, vcc
	global_store_dwordx2 v[2:3], v[0:1], off
.LBB0_15:
	s_endpgm
	.section	.rodata,"a",@progbits
	.p2align	6, 0x0
	.amdhsa_kernel bluestein_single_back_len1700_dim1_sp_op_CI_CI
		.amdhsa_group_segment_fixed_size 13600
		.amdhsa_private_segment_fixed_size 0
		.amdhsa_kernarg_size 104
		.amdhsa_user_sgpr_count 6
		.amdhsa_user_sgpr_private_segment_buffer 1
		.amdhsa_user_sgpr_dispatch_ptr 0
		.amdhsa_user_sgpr_queue_ptr 0
		.amdhsa_user_sgpr_kernarg_segment_ptr 1
		.amdhsa_user_sgpr_dispatch_id 0
		.amdhsa_user_sgpr_flat_scratch_init 0
		.amdhsa_user_sgpr_private_segment_size 0
		.amdhsa_uses_dynamic_stack 0
		.amdhsa_system_sgpr_private_segment_wavefront_offset 0
		.amdhsa_system_sgpr_workgroup_id_x 1
		.amdhsa_system_sgpr_workgroup_id_y 0
		.amdhsa_system_sgpr_workgroup_id_z 0
		.amdhsa_system_sgpr_workgroup_info 0
		.amdhsa_system_vgpr_workitem_id 0
		.amdhsa_next_free_vgpr 256
		.amdhsa_next_free_sgpr 20
		.amdhsa_reserve_vcc 1
		.amdhsa_reserve_flat_scratch 0
		.amdhsa_float_round_mode_32 0
		.amdhsa_float_round_mode_16_64 0
		.amdhsa_float_denorm_mode_32 3
		.amdhsa_float_denorm_mode_16_64 3
		.amdhsa_dx10_clamp 1
		.amdhsa_ieee_mode 1
		.amdhsa_fp16_overflow 0
		.amdhsa_exception_fp_ieee_invalid_op 0
		.amdhsa_exception_fp_denorm_src 0
		.amdhsa_exception_fp_ieee_div_zero 0
		.amdhsa_exception_fp_ieee_overflow 0
		.amdhsa_exception_fp_ieee_underflow 0
		.amdhsa_exception_fp_ieee_inexact 0
		.amdhsa_exception_int_div_zero 0
	.end_amdhsa_kernel
	.text
.Lfunc_end0:
	.size	bluestein_single_back_len1700_dim1_sp_op_CI_CI, .Lfunc_end0-bluestein_single_back_len1700_dim1_sp_op_CI_CI
                                        ; -- End function
	.section	.AMDGPU.csdata,"",@progbits
; Kernel info:
; codeLenInByte = 19404
; NumSgprs: 24
; NumVgprs: 256
; ScratchSize: 0
; MemoryBound: 0
; FloatMode: 240
; IeeeMode: 1
; LDSByteSize: 13600 bytes/workgroup (compile time only)
; SGPRBlocks: 2
; VGPRBlocks: 63
; NumSGPRsForWavesPerEU: 24
; NumVGPRsForWavesPerEU: 256
; Occupancy: 1
; WaveLimiterHint : 1
; COMPUTE_PGM_RSRC2:SCRATCH_EN: 0
; COMPUTE_PGM_RSRC2:USER_SGPR: 6
; COMPUTE_PGM_RSRC2:TRAP_HANDLER: 0
; COMPUTE_PGM_RSRC2:TGID_X_EN: 1
; COMPUTE_PGM_RSRC2:TGID_Y_EN: 0
; COMPUTE_PGM_RSRC2:TGID_Z_EN: 0
; COMPUTE_PGM_RSRC2:TIDIG_COMP_CNT: 0
	.type	__hip_cuid_1ab004bc31be3f0b,@object ; @__hip_cuid_1ab004bc31be3f0b
	.section	.bss,"aw",@nobits
	.globl	__hip_cuid_1ab004bc31be3f0b
__hip_cuid_1ab004bc31be3f0b:
	.byte	0                               ; 0x0
	.size	__hip_cuid_1ab004bc31be3f0b, 1

	.ident	"AMD clang version 19.0.0git (https://github.com/RadeonOpenCompute/llvm-project roc-6.4.0 25133 c7fe45cf4b819c5991fe208aaa96edf142730f1d)"
	.section	".note.GNU-stack","",@progbits
	.addrsig
	.addrsig_sym __hip_cuid_1ab004bc31be3f0b
	.amdgpu_metadata
---
amdhsa.kernels:
  - .args:
      - .actual_access:  read_only
        .address_space:  global
        .offset:         0
        .size:           8
        .value_kind:     global_buffer
      - .actual_access:  read_only
        .address_space:  global
        .offset:         8
        .size:           8
        .value_kind:     global_buffer
      - .actual_access:  read_only
        .address_space:  global
        .offset:         16
        .size:           8
        .value_kind:     global_buffer
      - .actual_access:  read_only
        .address_space:  global
        .offset:         24
        .size:           8
        .value_kind:     global_buffer
      - .actual_access:  read_only
        .address_space:  global
        .offset:         32
        .size:           8
        .value_kind:     global_buffer
      - .offset:         40
        .size:           8
        .value_kind:     by_value
      - .address_space:  global
        .offset:         48
        .size:           8
        .value_kind:     global_buffer
      - .address_space:  global
        .offset:         56
        .size:           8
        .value_kind:     global_buffer
      - .address_space:  global
        .offset:         64
        .size:           8
        .value_kind:     global_buffer
      - .address_space:  global
        .offset:         72
        .size:           8
        .value_kind:     global_buffer
      - .offset:         80
        .size:           4
        .value_kind:     by_value
      - .address_space:  global
        .offset:         88
        .size:           8
        .value_kind:     global_buffer
      - .address_space:  global
        .offset:         96
        .size:           8
        .value_kind:     global_buffer
    .group_segment_fixed_size: 13600
    .kernarg_segment_align: 8
    .kernarg_segment_size: 104
    .language:       OpenCL C
    .language_version:
      - 2
      - 0
    .max_flat_workgroup_size: 170
    .name:           bluestein_single_back_len1700_dim1_sp_op_CI_CI
    .private_segment_fixed_size: 0
    .sgpr_count:     24
    .sgpr_spill_count: 0
    .symbol:         bluestein_single_back_len1700_dim1_sp_op_CI_CI.kd
    .uniform_work_group_size: 1
    .uses_dynamic_stack: false
    .vgpr_count:     256
    .vgpr_spill_count: 0
    .wavefront_size: 64
amdhsa.target:   amdgcn-amd-amdhsa--gfx906
amdhsa.version:
  - 1
  - 2
...

	.end_amdgpu_metadata
